;; amdgpu-corpus repo=ROCm/rocFFT kind=compiled arch=gfx1030 opt=O3
	.text
	.amdgcn_target "amdgcn-amd-amdhsa--gfx1030"
	.amdhsa_code_object_version 6
	.protected	fft_rtc_fwd_len272_factors_16_17_wgs_119_tpt_17_halfLds_dp_op_CI_CI_unitstride_sbrr_R2C_dirReg ; -- Begin function fft_rtc_fwd_len272_factors_16_17_wgs_119_tpt_17_halfLds_dp_op_CI_CI_unitstride_sbrr_R2C_dirReg
	.globl	fft_rtc_fwd_len272_factors_16_17_wgs_119_tpt_17_halfLds_dp_op_CI_CI_unitstride_sbrr_R2C_dirReg
	.p2align	8
	.type	fft_rtc_fwd_len272_factors_16_17_wgs_119_tpt_17_halfLds_dp_op_CI_CI_unitstride_sbrr_R2C_dirReg,@function
fft_rtc_fwd_len272_factors_16_17_wgs_119_tpt_17_halfLds_dp_op_CI_CI_unitstride_sbrr_R2C_dirReg: ; @fft_rtc_fwd_len272_factors_16_17_wgs_119_tpt_17_halfLds_dp_op_CI_CI_unitstride_sbrr_R2C_dirReg
; %bb.0:
	s_load_dwordx4 s[12:15], s[4:5], 0x0
	v_mul_u32_u24_e32 v1, 0xf10, v0
	s_clause 0x1
	s_load_dwordx4 s[8:11], s[4:5], 0x58
	s_load_dwordx4 s[16:19], s[4:5], 0x18
	v_mov_b32_e32 v5, 0
	v_lshrrev_b32_e32 v3, 16, v1
	v_mov_b32_e32 v1, 0
	v_mov_b32_e32 v2, 0
	v_mad_u64_u32 v[3:4], null, s6, 7, v[3:4]
	v_mov_b32_e32 v4, v5
	v_mov_b32_e32 v69, v2
	;; [unrolled: 1-line block ×5, first 2 shown]
	s_waitcnt lgkmcnt(0)
	v_cmp_lt_u64_e64 s0, s[14:15], 2
	s_and_b32 vcc_lo, exec_lo, s0
	s_cbranch_vccnz .LBB0_8
; %bb.1:
	s_load_dwordx2 s[0:1], s[4:5], 0x10
	v_mov_b32_e32 v1, 0
	v_mov_b32_e32 v2, 0
	s_add_u32 s2, s18, 8
	v_mov_b32_e32 v8, v4
	s_addc_u32 s3, s19, 0
	v_mov_b32_e32 v7, v3
	v_mov_b32_e32 v69, v2
	s_add_u32 s6, s16, 8
	v_mov_b32_e32 v68, v1
	s_addc_u32 s7, s17, 0
	s_mov_b64 s[22:23], 1
	s_waitcnt lgkmcnt(0)
	s_add_u32 s20, s0, 8
	s_addc_u32 s21, s1, 0
.LBB0_2:                                ; =>This Inner Loop Header: Depth=1
	s_load_dwordx2 s[24:25], s[20:21], 0x0
                                        ; implicit-def: $vgpr72_vgpr73
	s_mov_b32 s0, exec_lo
	s_waitcnt lgkmcnt(0)
	v_or_b32_e32 v6, s25, v8
	v_cmpx_ne_u64_e32 0, v[5:6]
	s_xor_b32 s1, exec_lo, s0
	s_cbranch_execz .LBB0_4
; %bb.3:                                ;   in Loop: Header=BB0_2 Depth=1
	v_cvt_f32_u32_e32 v4, s24
	v_cvt_f32_u32_e32 v6, s25
	s_sub_u32 s0, 0, s24
	s_subb_u32 s26, 0, s25
	v_fmac_f32_e32 v4, 0x4f800000, v6
	v_rcp_f32_e32 v4, v4
	v_mul_f32_e32 v4, 0x5f7ffffc, v4
	v_mul_f32_e32 v6, 0x2f800000, v4
	v_trunc_f32_e32 v6, v6
	v_fmac_f32_e32 v4, 0xcf800000, v6
	v_cvt_u32_f32_e32 v6, v6
	v_cvt_u32_f32_e32 v4, v4
	v_mul_lo_u32 v9, s0, v6
	v_mul_hi_u32 v10, s0, v4
	v_mul_lo_u32 v11, s26, v4
	v_add_nc_u32_e32 v9, v10, v9
	v_mul_lo_u32 v10, s0, v4
	v_add_nc_u32_e32 v9, v9, v11
	v_mul_hi_u32 v11, v4, v10
	v_mul_lo_u32 v12, v4, v9
	v_mul_hi_u32 v13, v4, v9
	v_mul_hi_u32 v14, v6, v10
	v_mul_lo_u32 v10, v6, v10
	v_mul_hi_u32 v15, v6, v9
	v_mul_lo_u32 v9, v6, v9
	v_add_co_u32 v11, vcc_lo, v11, v12
	v_add_co_ci_u32_e32 v12, vcc_lo, 0, v13, vcc_lo
	v_add_co_u32 v10, vcc_lo, v11, v10
	v_add_co_ci_u32_e32 v10, vcc_lo, v12, v14, vcc_lo
	v_add_co_ci_u32_e32 v11, vcc_lo, 0, v15, vcc_lo
	v_add_co_u32 v9, vcc_lo, v10, v9
	v_add_co_ci_u32_e32 v10, vcc_lo, 0, v11, vcc_lo
	v_add_co_u32 v4, vcc_lo, v4, v9
	v_add_co_ci_u32_e32 v6, vcc_lo, v6, v10, vcc_lo
	v_mul_hi_u32 v9, s0, v4
	v_mul_lo_u32 v11, s26, v4
	v_mul_lo_u32 v10, s0, v6
	v_add_nc_u32_e32 v9, v9, v10
	v_mul_lo_u32 v10, s0, v4
	v_add_nc_u32_e32 v9, v9, v11
	v_mul_hi_u32 v11, v4, v10
	v_mul_lo_u32 v12, v4, v9
	v_mul_hi_u32 v13, v4, v9
	v_mul_hi_u32 v14, v6, v10
	v_mul_lo_u32 v10, v6, v10
	v_mul_hi_u32 v15, v6, v9
	v_mul_lo_u32 v9, v6, v9
	v_add_co_u32 v11, vcc_lo, v11, v12
	v_add_co_ci_u32_e32 v12, vcc_lo, 0, v13, vcc_lo
	v_add_co_u32 v10, vcc_lo, v11, v10
	v_add_co_ci_u32_e32 v10, vcc_lo, v12, v14, vcc_lo
	v_add_co_ci_u32_e32 v11, vcc_lo, 0, v15, vcc_lo
	v_add_co_u32 v9, vcc_lo, v10, v9
	v_add_co_ci_u32_e32 v10, vcc_lo, 0, v11, vcc_lo
	v_add_co_u32 v4, vcc_lo, v4, v9
	v_add_co_ci_u32_e32 v6, vcc_lo, v6, v10, vcc_lo
	v_mul_hi_u32 v15, v7, v4
	v_mad_u64_u32 v[11:12], null, v8, v4, 0
	v_mad_u64_u32 v[9:10], null, v7, v6, 0
	;; [unrolled: 1-line block ×3, first 2 shown]
	v_add_co_u32 v4, vcc_lo, v15, v9
	v_add_co_ci_u32_e32 v6, vcc_lo, 0, v10, vcc_lo
	v_add_co_u32 v4, vcc_lo, v4, v11
	v_add_co_ci_u32_e32 v4, vcc_lo, v6, v12, vcc_lo
	v_add_co_ci_u32_e32 v6, vcc_lo, 0, v14, vcc_lo
	v_add_co_u32 v4, vcc_lo, v4, v13
	v_add_co_ci_u32_e32 v6, vcc_lo, 0, v6, vcc_lo
	v_mul_lo_u32 v11, s25, v4
	v_mad_u64_u32 v[9:10], null, s24, v4, 0
	v_mul_lo_u32 v12, s24, v6
	v_sub_co_u32 v9, vcc_lo, v7, v9
	v_add3_u32 v10, v10, v12, v11
	v_sub_nc_u32_e32 v11, v8, v10
	v_subrev_co_ci_u32_e64 v11, s0, s25, v11, vcc_lo
	v_add_co_u32 v12, s0, v4, 2
	v_add_co_ci_u32_e64 v13, s0, 0, v6, s0
	v_sub_co_u32 v14, s0, v9, s24
	v_sub_co_ci_u32_e32 v10, vcc_lo, v8, v10, vcc_lo
	v_subrev_co_ci_u32_e64 v11, s0, 0, v11, s0
	v_cmp_le_u32_e32 vcc_lo, s24, v14
	v_cmp_eq_u32_e64 s0, s25, v10
	v_cndmask_b32_e64 v14, 0, -1, vcc_lo
	v_cmp_le_u32_e32 vcc_lo, s25, v11
	v_cndmask_b32_e64 v15, 0, -1, vcc_lo
	v_cmp_le_u32_e32 vcc_lo, s24, v9
	;; [unrolled: 2-line block ×3, first 2 shown]
	v_cndmask_b32_e64 v16, 0, -1, vcc_lo
	v_cmp_eq_u32_e32 vcc_lo, s25, v11
	v_cndmask_b32_e64 v9, v16, v9, s0
	v_cndmask_b32_e32 v11, v15, v14, vcc_lo
	v_add_co_u32 v14, vcc_lo, v4, 1
	v_add_co_ci_u32_e32 v15, vcc_lo, 0, v6, vcc_lo
	v_cmp_ne_u32_e32 vcc_lo, 0, v11
	v_cndmask_b32_e32 v10, v15, v13, vcc_lo
	v_cndmask_b32_e32 v11, v14, v12, vcc_lo
	v_cmp_ne_u32_e32 vcc_lo, 0, v9
	v_cndmask_b32_e32 v73, v6, v10, vcc_lo
	v_cndmask_b32_e32 v72, v4, v11, vcc_lo
.LBB0_4:                                ;   in Loop: Header=BB0_2 Depth=1
	s_andn2_saveexec_b32 s0, s1
	s_cbranch_execz .LBB0_6
; %bb.5:                                ;   in Loop: Header=BB0_2 Depth=1
	v_cvt_f32_u32_e32 v4, s24
	s_sub_i32 s1, 0, s24
	v_mov_b32_e32 v73, v5
	v_rcp_iflag_f32_e32 v4, v4
	v_mul_f32_e32 v4, 0x4f7ffffe, v4
	v_cvt_u32_f32_e32 v4, v4
	v_mul_lo_u32 v6, s1, v4
	v_mul_hi_u32 v6, v4, v6
	v_add_nc_u32_e32 v4, v4, v6
	v_mul_hi_u32 v4, v7, v4
	v_mul_lo_u32 v6, v4, s24
	v_add_nc_u32_e32 v9, 1, v4
	v_sub_nc_u32_e32 v6, v7, v6
	v_subrev_nc_u32_e32 v10, s24, v6
	v_cmp_le_u32_e32 vcc_lo, s24, v6
	v_cndmask_b32_e32 v6, v6, v10, vcc_lo
	v_cndmask_b32_e32 v4, v4, v9, vcc_lo
	v_cmp_le_u32_e32 vcc_lo, s24, v6
	v_add_nc_u32_e32 v9, 1, v4
	v_cndmask_b32_e32 v72, v4, v9, vcc_lo
.LBB0_6:                                ;   in Loop: Header=BB0_2 Depth=1
	s_or_b32 exec_lo, exec_lo, s0
	v_mul_lo_u32 v4, v73, s24
	v_mul_lo_u32 v6, v72, s25
	s_load_dwordx2 s[0:1], s[6:7], 0x0
	v_mad_u64_u32 v[9:10], null, v72, s24, 0
	s_load_dwordx2 s[24:25], s[2:3], 0x0
	s_add_u32 s22, s22, 1
	s_addc_u32 s23, s23, 0
	s_add_u32 s2, s2, 8
	s_addc_u32 s3, s3, 0
	s_add_u32 s6, s6, 8
	v_add3_u32 v4, v10, v6, v4
	v_sub_co_u32 v6, vcc_lo, v7, v9
	s_addc_u32 s7, s7, 0
	s_add_u32 s20, s20, 8
	v_sub_co_ci_u32_e32 v4, vcc_lo, v8, v4, vcc_lo
	s_addc_u32 s21, s21, 0
	s_waitcnt lgkmcnt(0)
	v_mul_lo_u32 v7, s0, v4
	v_mul_lo_u32 v8, s1, v6
	v_mad_u64_u32 v[1:2], null, s0, v6, v[1:2]
	v_mul_lo_u32 v4, s24, v4
	v_mul_lo_u32 v9, s25, v6
	v_mad_u64_u32 v[68:69], null, s24, v6, v[68:69]
	v_cmp_ge_u64_e64 s0, s[22:23], s[14:15]
	v_add3_u32 v2, v8, v2, v7
	v_add3_u32 v69, v9, v69, v4
	s_and_b32 vcc_lo, exec_lo, s0
	s_cbranch_vccnz .LBB0_8
; %bb.7:                                ;   in Loop: Header=BB0_2 Depth=1
	v_mov_b32_e32 v7, v72
	v_mov_b32_e32 v8, v73
	s_branch .LBB0_2
.LBB0_8:
	v_mul_hi_u32 v4, 0x24924925, v3
	s_load_dwordx2 s[0:1], s[4:5], 0x28
	s_lshl_b64 s[4:5], s[14:15], 3
                                        ; implicit-def: $vgpr70
	s_add_u32 s2, s18, s4
	s_addc_u32 s3, s19, s5
	v_sub_nc_u32_e32 v5, v3, v4
	v_lshrrev_b32_e32 v5, 1, v5
	v_add_nc_u32_e32 v4, v5, v4
	s_waitcnt lgkmcnt(0)
	v_cmp_gt_u64_e32 vcc_lo, s[0:1], v[72:73]
	v_cmp_le_u64_e64 s0, s[0:1], v[72:73]
	v_lshrrev_b32_e32 v4, 2, v4
	v_mul_lo_u32 v5, v4, 7
	v_mul_hi_u32 v4, 0xf0f0f10, v0
	v_sub_nc_u32_e32 v3, v3, v5
	s_and_saveexec_b32 s1, s0
	s_xor_b32 s0, exec_lo, s1
; %bb.9:
	v_mul_u32_u24_e32 v1, 17, v4
                                        ; implicit-def: $vgpr4
	v_sub_nc_u32_e32 v70, v0, v1
                                        ; implicit-def: $vgpr0
                                        ; implicit-def: $vgpr1_vgpr2
; %bb.10:
	s_or_saveexec_b32 s1, s0
	v_mul_u32_u24_e32 v3, 0x111, v3
	v_lshlrev_b32_e32 v48, 4, v3
	s_xor_b32 exec_lo, exec_lo, s1
	s_cbranch_execz .LBB0_12
; %bb.11:
	s_add_u32 s4, s16, s4
	s_addc_u32 s5, s17, s5
	v_lshlrev_b64 v[1:2], 4, v[1:2]
	s_load_dwordx2 s[4:5], s[4:5], 0x0
	s_waitcnt lgkmcnt(0)
	v_mul_lo_u32 v3, s5, v72
	v_mul_lo_u32 v7, s4, v73
	v_mad_u64_u32 v[5:6], null, s4, v72, 0
	v_add3_u32 v6, v6, v7, v3
	v_mul_u32_u24_e32 v7, 17, v4
	v_lshlrev_b64 v[3:4], 4, v[5:6]
	v_sub_nc_u32_e32 v70, v0, v7
	v_lshlrev_b32_e32 v65, 4, v70
	v_add_co_u32 v0, s0, s8, v3
	v_add_co_ci_u32_e64 v3, s0, s9, v4, s0
	v_add_co_u32 v0, s0, v0, v1
	v_add_co_ci_u32_e64 v1, s0, v3, v2, s0
	;; [unrolled: 2-line block ×3, first 2 shown]
	s_clause 0x3
	global_load_dwordx4 v[0:3], v[28:29], off
	global_load_dwordx4 v[4:7], v[28:29], off offset:272
	global_load_dwordx4 v[8:11], v[28:29], off offset:544
	;; [unrolled: 1-line block ×3, first 2 shown]
	v_add_co_u32 v61, s0, 0x800, v28
	v_add_co_ci_u32_e64 v62, s0, 0, v29, s0
	s_clause 0xb
	global_load_dwordx4 v[16:19], v[28:29], off offset:1088
	global_load_dwordx4 v[20:23], v[28:29], off offset:1360
	;; [unrolled: 1-line block ×12, first 2 shown]
	v_add3_u32 v65, 0, v48, v65
	s_waitcnt vmcnt(15)
	ds_write_b128 v65, v[0:3]
	s_waitcnt vmcnt(14)
	ds_write_b128 v65, v[4:7] offset:272
	s_waitcnt vmcnt(13)
	ds_write_b128 v65, v[8:11] offset:544
	;; [unrolled: 2-line block ×15, first 2 shown]
.LBB0_12:
	s_or_b32 exec_lo, exec_lo, s1
	v_lshlrev_b32_e32 v71, 4, v70
	v_add_nc_u32_e32 v194, 0, v48
	s_load_dwordx2 s[2:3], s[2:3], 0x0
	s_waitcnt lgkmcnt(0)
	s_barrier
	v_add3_u32 v196, 0, v71, v48
	v_add_nc_u32_e32 v195, v194, v71
	buffer_gl0_inv
	s_mov_b32 s0, 0x667f3bcd
	s_mov_b32 s1, 0xbfe6a09e
	ds_read_b128 v[0:3], v196 offset:2176
	ds_read_b128 v[4:7], v196 offset:1088
	;; [unrolled: 1-line block ×3, first 2 shown]
	ds_read_b128 v[12:15], v195
	ds_read_b128 v[16:19], v196 offset:2720
	ds_read_b128 v[20:23], v196 offset:272
	;; [unrolled: 1-line block ×12, first 2 shown]
	s_mov_b32 s5, 0x3fe6a09e
	s_mov_b32 s4, s0
	;; [unrolled: 1-line block ×6, first 2 shown]
	s_waitcnt lgkmcnt(13)
	v_add_f64 v[8:9], v[4:5], -v[8:9]
	s_waitcnt lgkmcnt(12)
	v_add_f64 v[0:1], v[12:13], -v[0:1]
	v_add_f64 v[2:3], v[14:15], -v[2:3]
	;; [unrolled: 1-line block ×3, first 2 shown]
	s_waitcnt lgkmcnt(9)
	v_add_f64 v[16:17], v[24:25], -v[16:17]
	v_add_f64 v[18:19], v[26:27], -v[18:19]
	s_mov_b32 s15, 0x3fd87de2
	s_waitcnt lgkmcnt(6)
	v_add_f64 v[32:33], v[36:37], -v[32:33]
	v_add_f64 v[34:35], v[38:39], -v[34:35]
	s_waitcnt lgkmcnt(4)
	v_add_f64 v[44:45], v[20:21], -v[44:45]
	v_add_f64 v[46:47], v[22:23], -v[46:47]
	s_waitcnt lgkmcnt(2)
	v_add_f64 v[55:56], v[42:43], -v[55:56]
	v_add_f64 v[49:50], v[28:29], -v[49:50]
	s_waitcnt lgkmcnt(0)
	v_add_f64 v[63:64], v[59:60], -v[63:64]
	v_add_f64 v[53:54], v[40:41], -v[53:54]
	v_add_f64 v[51:52], v[30:31], -v[51:52]
	v_add_f64 v[61:62], v[57:58], -v[61:62]
	s_mov_b32 s17, 0x3fed906b
	s_mov_b32 s16, s6
	;; [unrolled: 1-line block ×3, first 2 shown]
	s_barrier
	v_fma_f64 v[4:5], v[4:5], 2.0, -v[8:9]
	v_fma_f64 v[12:13], v[12:13], 2.0, -v[0:1]
	v_add_f64 v[8:9], v[2:3], v[8:9]
	v_fma_f64 v[6:7], v[6:7], 2.0, -v[10:11]
	v_add_f64 v[10:11], v[0:1], -v[10:11]
	v_fma_f64 v[14:15], v[14:15], 2.0, -v[2:3]
	v_fma_f64 v[24:25], v[24:25], 2.0, -v[16:17]
	;; [unrolled: 1-line block ×4, first 2 shown]
	v_add_f64 v[34:35], v[16:17], -v[34:35]
	v_add_f64 v[32:33], v[18:19], v[32:33]
	v_add_f64 v[65:66], v[44:45], -v[55:56]
	v_fma_f64 v[26:27], v[26:27], 2.0, -v[18:19]
	v_add_f64 v[74:75], v[49:50], -v[63:64]
	v_add_f64 v[76:77], v[46:47], v[53:54]
	v_fma_f64 v[20:21], v[20:21], 2.0, -v[44:45]
	v_add_f64 v[78:79], v[51:52], v[61:62]
	v_fma_f64 v[22:23], v[22:23], 2.0, -v[46:47]
	v_fma_f64 v[40:41], v[40:41], 2.0, -v[53:54]
	;; [unrolled: 1-line block ×8, first 2 shown]
	v_add_f64 v[4:5], v[12:13], -v[4:5]
	v_fma_f64 v[0:1], v[0:1], 2.0, -v[10:11]
	v_add_f64 v[6:7], v[14:15], -v[6:7]
	buffer_gl0_inv
	v_add_f64 v[36:37], v[24:25], -v[36:37]
	v_fma_f64 v[16:17], v[16:17], 2.0, -v[34:35]
	v_fma_f64 v[18:19], v[18:19], 2.0, -v[32:33]
	;; [unrolled: 1-line block ×3, first 2 shown]
	v_add_f64 v[38:39], v[26:27], -v[38:39]
	v_fma_f64 v[49:50], v[49:50], 2.0, -v[74:75]
	v_fma_f64 v[46:47], v[46:47], 2.0, -v[76:77]
	v_fma_f64 v[57:58], v[74:75], s[4:5], v[65:66]
	v_fma_f64 v[51:52], v[51:52], 2.0, -v[78:79]
	v_fma_f64 v[59:60], v[78:79], s[4:5], v[76:77]
	v_add_f64 v[40:41], v[20:21], -v[40:41]
	v_add_f64 v[42:43], v[22:23], -v[42:43]
	v_fma_f64 v[61:62], v[34:35], s[4:5], v[10:11]
	v_fma_f64 v[63:64], v[32:33], s[4:5], v[8:9]
	v_add_f64 v[53:54], v[30:31], -v[53:54]
	v_add_f64 v[55:56], v[28:29], -v[55:56]
	v_fma_f64 v[12:13], v[12:13], 2.0, -v[4:5]
	v_fma_f64 v[14:15], v[14:15], 2.0, -v[6:7]
	v_add_f64 v[90:91], v[6:7], v[36:37]
	v_fma_f64 v[24:25], v[24:25], 2.0, -v[36:37]
	v_fma_f64 v[84:85], v[16:17], s[0:1], v[0:1]
	v_fma_f64 v[86:87], v[18:19], s[0:1], v[2:3]
	v_add_f64 v[88:89], v[4:5], -v[38:39]
	v_fma_f64 v[80:81], v[49:50], s[0:1], v[44:45]
	v_fma_f64 v[26:27], v[26:27], 2.0, -v[38:39]
	v_fma_f64 v[82:83], v[51:52], s[0:1], v[46:47]
	v_fma_f64 v[20:21], v[20:21], 2.0, -v[40:41]
	v_fma_f64 v[22:23], v[22:23], 2.0, -v[42:43]
	v_fma_f64 v[32:33], v[32:33], s[0:1], v[61:62]
	v_fma_f64 v[34:35], v[34:35], s[4:5], v[63:64]
	v_add_f64 v[92:93], v[40:41], -v[53:54]
	v_add_f64 v[94:95], v[42:43], v[55:56]
	v_fma_f64 v[28:29], v[28:29], 2.0, -v[55:56]
	v_fma_f64 v[30:31], v[30:31], 2.0, -v[53:54]
	v_fma_f64 v[53:54], v[78:79], s[0:1], v[57:58]
	v_fma_f64 v[55:56], v[74:75], s[4:5], v[59:60]
	v_fma_f64 v[6:7], v[6:7], 2.0, -v[90:91]
	v_add_f64 v[60:61], v[12:13], -v[24:25]
	v_fma_f64 v[74:75], v[18:19], s[0:1], v[84:85]
	v_fma_f64 v[78:79], v[16:17], s[4:5], v[86:87]
	v_fma_f64 v[4:5], v[4:5], 2.0, -v[88:89]
	v_fma_f64 v[57:58], v[51:52], s[0:1], v[80:81]
	v_add_f64 v[62:63], v[14:15], -v[26:27]
	v_fma_f64 v[49:50], v[49:50], s[4:5], v[82:83]
	v_fma_f64 v[80:81], v[8:9], 2.0, -v[34:35]
	v_fma_f64 v[16:17], v[40:41], 2.0, -v[92:93]
	;; [unrolled: 1-line block ×3, first 2 shown]
	v_add_f64 v[28:29], v[20:21], -v[28:29]
	v_add_f64 v[30:31], v[22:23], -v[30:31]
	v_fma_f64 v[42:43], v[65:66], 2.0, -v[53:54]
	v_fma_f64 v[40:41], v[76:77], 2.0, -v[55:56]
	;; [unrolled: 1-line block ×6, first 2 shown]
	v_fma_f64 v[0:1], v[92:93], s[4:5], v[88:89]
	v_fma_f64 v[2:3], v[94:95], s[4:5], v[90:91]
	v_fma_f64 v[8:9], v[44:45], 2.0, -v[57:58]
	v_fma_f64 v[44:45], v[53:54], s[16:17], v[32:33]
	v_fma_f64 v[96:97], v[14:15], 2.0, -v[62:63]
	v_fma_f64 v[10:11], v[46:47], 2.0, -v[49:50]
	v_fma_f64 v[46:47], v[55:56], s[16:17], v[34:35]
	v_fma_f64 v[104:105], v[57:58], s[14:15], v[74:75]
	;; [unrolled: 1-line block ×5, first 2 shown]
	v_fma_f64 v[20:21], v[20:21], 2.0, -v[28:29]
	v_fma_f64 v[22:23], v[22:23], 2.0, -v[30:31]
	v_add_f64 v[36:37], v[60:61], -v[30:31]
	v_fma_f64 v[102:103], v[40:41], s[8:9], v[80:81]
	v_fma_f64 v[100:101], v[42:43], s[8:9], v[76:77]
	v_add_f64 v[38:39], v[62:63], v[28:29]
	v_fma_f64 v[24:25], v[94:95], s[0:1], v[0:1]
	v_fma_f64 v[26:27], v[92:93], s[4:5], v[2:3]
	;; [unrolled: 1-line block ×8, first 2 shown]
	v_lshl_add_u32 v49, v70, 8, 0
	v_fma_f64 v[52:53], v[18:19], s[0:1], v[51:52]
	v_fma_f64 v[54:55], v[16:17], s[4:5], v[98:99]
	v_add_f64 v[64:65], v[86:87], -v[20:21]
	v_add_f64 v[66:67], v[96:97], -v[22:23]
	v_fma_f64 v[20:21], v[60:61], 2.0, -v[36:37]
	v_fma_f64 v[42:43], v[42:43], s[16:17], v[102:103]
	v_fma_f64 v[40:41], v[40:41], s[6:7], v[100:101]
	v_fma_f64 v[22:23], v[62:63], 2.0, -v[38:39]
	v_add_nc_u32_e32 v50, v49, v48
	v_cmp_gt_u32_e64 s0, 16, v70
	v_fma_f64 v[44:45], v[88:89], 2.0, -v[24:25]
	v_fma_f64 v[46:47], v[90:91], 2.0, -v[26:27]
	v_fma_f64 v[56:57], v[10:11], s[8:9], v[108:109]
	v_fma_f64 v[60:61], v[32:33], 2.0, -v[12:13]
	v_fma_f64 v[58:59], v[8:9], s[14:15], v[110:111]
	v_fma_f64 v[62:63], v[34:35], 2.0, -v[14:15]
	v_fma_f64 v[32:33], v[74:75], 2.0, -v[28:29]
	;; [unrolled: 1-line block ×11, first 2 shown]
	ds_write_b128 v50, v[36:39] offset:192
	ds_write_b128 v50, v[24:27] offset:224
	;; [unrolled: 1-line block ×10, first 2 shown]
	ds_write_b128 v50, v[0:3]
	ds_write_b128 v50, v[8:11] offset:32
	ds_write_b128 v50, v[16:19] offset:48
	ds_write_b128 v50, v[32:35] offset:80
	ds_write_b128 v50, v[56:59] offset:144
	ds_write_b128 v50, v[4:7] offset:16
	s_waitcnt lgkmcnt(0)
	s_barrier
	buffer_gl0_inv
                                        ; implicit-def: $vgpr50_vgpr51
	s_and_saveexec_b32 s1, s0
	s_cbranch_execz .LBB0_14
; %bb.13:
	v_mul_i32_i24_e32 v0, 0xffffff10, v70
	v_add3_u32 v48, v49, v0, v48
	ds_read_b128 v[0:3], v195
	ds_read_b128 v[4:7], v48 offset:256
	ds_read_b128 v[8:11], v48 offset:512
	;; [unrolled: 1-line block ×16, first 2 shown]
.LBB0_14:
	s_or_b32 exec_lo, exec_lo, s1
	s_waitcnt lgkmcnt(0)
	s_barrier
	buffer_gl0_inv
	s_and_saveexec_b32 s33, s0
	s_cbranch_execz .LBB0_16
; %bb.15:
	v_and_b32_e32 v74, 0xf0, v71
	s_mov_b32 s0, 0x7faef3
	s_mov_b32 s1, 0xbfef7484
	;; [unrolled: 1-line block ×4, first 2 shown]
	v_lshlrev_b32_e32 v116, 4, v74
	s_mov_b32 s37, 0x3fedd6d0
	s_mov_b32 s5, 0x3fc7851a
	;; [unrolled: 1-line block ×4, first 2 shown]
	s_clause 0x1
	global_load_dwordx4 v[76:79], v116, s[12:13] offset:112
	global_load_dwordx4 v[80:83], v116, s[12:13] offset:96
	s_mov_b32 s39, 0xbfc7851a
	s_mov_b32 s38, s4
	;; [unrolled: 1-line block ×40, first 2 shown]
	s_waitcnt vmcnt(1)
	v_mul_f64 v[74:75], v[64:65], v[78:79]
	v_fma_f64 v[74:75], v[66:67], v[76:77], v[74:75]
	v_mul_f64 v[66:67], v[66:67], v[78:79]
	v_fma_f64 v[64:65], v[64:65], v[76:77], -v[66:67]
	s_clause 0x1
	global_load_dwordx4 v[76:79], v116, s[12:13] offset:128
	global_load_dwordx4 v[84:87], v116, s[12:13] offset:144
	s_waitcnt vmcnt(1)
	v_mul_f64 v[66:67], v[56:57], v[78:79]
	v_fma_f64 v[66:67], v[58:59], v[76:77], v[66:67]
	v_mul_f64 v[58:59], v[58:59], v[78:79]
	v_add_f64 v[182:183], v[74:75], v[66:67]
	v_fma_f64 v[76:77], v[56:57], v[76:77], -v[58:59]
	v_mul_f64 v[56:57], v[60:61], v[82:83]
	v_add_f64 v[184:185], v[74:75], -v[66:67]
	v_mul_f64 v[199:200], v[182:183], s[14:15]
	v_add_f64 v[148:149], v[64:65], -v[76:77]
	v_fma_f64 v[78:79], v[62:63], v[80:81], v[56:57]
	v_mul_f64 v[56:57], v[62:63], v[82:83]
	v_add_f64 v[150:151], v[64:65], v[76:77]
	v_mul_f64 v[201:202], v[184:185], s[46:47]
	v_mul_f64 v[207:208], v[182:183], s[16:17]
	;; [unrolled: 1-line block ×7, first 2 shown]
	v_fma_f64 v[62:63], v[60:61], v[80:81], -v[56:57]
	s_waitcnt vmcnt(0)
	v_mul_f64 v[56:57], v[52:53], v[86:87]
	v_fma_f64 v[60:61], v[54:55], v[84:85], v[56:57]
	v_mul_f64 v[54:55], v[54:55], v[86:87]
	v_add_f64 v[186:187], v[78:79], v[60:61]
	v_fma_f64 v[80:81], v[52:53], v[84:85], -v[54:55]
	s_clause 0x1
	global_load_dwordx4 v[52:55], v116, s[12:13] offset:80
	global_load_dwordx4 v[56:59], v116, s[12:13] offset:64
	v_add_f64 v[180:181], v[78:79], -v[60:61]
	v_add_f64 v[144:145], v[62:63], -v[80:81]
	v_add_f64 v[146:147], v[62:63], v[80:81]
	s_waitcnt vmcnt(1)
	v_mul_f64 v[82:83], v[44:45], v[54:55]
	v_fma_f64 v[82:83], v[46:47], v[52:53], v[82:83]
	v_mul_f64 v[46:47], v[46:47], v[54:55]
	v_fma_f64 v[84:85], v[44:45], v[52:53], -v[46:47]
	s_clause 0x1
	global_load_dwordx4 v[44:47], v116, s[12:13] offset:160
	global_load_dwordx4 v[52:55], v116, s[12:13] offset:176
	s_waitcnt vmcnt(1)
	v_mul_f64 v[86:87], v[40:41], v[46:47]
	v_fma_f64 v[86:87], v[42:43], v[44:45], v[86:87]
	v_mul_f64 v[42:43], v[42:43], v[46:47]
	v_mul_f64 v[46:47], v[182:183], s[24:25]
	v_add_f64 v[178:179], v[82:83], v[86:87]
	v_fma_f64 v[88:89], v[40:41], v[44:45], -v[42:43]
	v_mul_f64 v[40:41], v[32:33], v[58:59]
	v_add_f64 v[176:177], v[82:83], -v[86:87]
	v_add_f64 v[140:141], v[84:85], -v[88:89]
	v_fma_f64 v[94:95], v[34:35], v[56:57], v[40:41]
	v_mul_f64 v[34:35], v[34:35], v[58:59]
	v_add_f64 v[142:143], v[84:85], v[88:89]
	v_fma_f64 v[96:97], v[32:33], v[56:57], -v[34:35]
	s_waitcnt vmcnt(0)
	v_mul_f64 v[32:33], v[36:37], v[54:55]
	v_mul_f64 v[56:57], v[184:185], s[28:29]
	v_fma_f64 v[90:91], v[38:39], v[52:53], v[32:33]
	v_mul_f64 v[32:33], v[38:39], v[54:55]
	v_mul_f64 v[54:55], v[182:183], s[22:23]
	v_add_f64 v[174:175], v[94:95], v[90:91]
	v_fma_f64 v[92:93], v[36:37], v[52:53], -v[32:33]
	s_clause 0x1
	global_load_dwordx4 v[32:35], v116, s[12:13] offset:48
	global_load_dwordx4 v[36:39], v116, s[12:13] offset:32
	v_add_f64 v[172:173], v[94:95], -v[90:91]
	v_add_f64 v[136:137], v[96:97], -v[92:93]
	v_add_f64 v[138:139], v[96:97], v[92:93]
	s_waitcnt vmcnt(1)
	v_mul_f64 v[40:41], v[20:21], v[34:35]
	v_fma_f64 v[106:107], v[22:23], v[32:33], v[40:41]
	v_mul_f64 v[22:23], v[22:23], v[34:35]
	v_fma_f64 v[108:109], v[20:21], v[32:33], -v[22:23]
	s_clause 0x1
	global_load_dwordx4 v[20:23], v116, s[12:13] offset:192
	global_load_dwordx4 v[32:35], v116, s[12:13] offset:208
	s_waitcnt vmcnt(1)
	v_mul_f64 v[40:41], v[28:29], v[22:23]
	v_mul_f64 v[22:23], v[30:31], v[22:23]
	v_fma_f64 v[98:99], v[30:31], v[20:21], v[40:41]
	v_fma_f64 v[100:101], v[28:29], v[20:21], -v[22:23]
	v_mul_f64 v[20:21], v[16:17], v[38:39]
	v_mul_f64 v[40:41], v[184:185], s[34:35]
	v_add_f64 v[170:171], v[106:107], v[98:99]
	v_add_f64 v[132:133], v[108:109], -v[100:101]
	v_fma_f64 v[110:111], v[18:19], v[36:37], v[20:21]
	v_mul_f64 v[18:19], v[18:19], v[38:39]
	v_add_f64 v[168:169], v[106:107], -v[98:99]
	v_add_f64 v[134:135], v[108:109], v[100:101]
	v_mul_f64 v[38:39], v[182:183], s[30:31]
	v_mul_f64 v[182:183], v[182:183], s[0:1]
	v_fma_f64 v[112:113], v[16:17], v[36:37], -v[18:19]
	s_waitcnt vmcnt(0)
	v_mul_f64 v[16:17], v[24:25], v[34:35]
	v_fma_f64 v[102:103], v[26:27], v[32:33], v[16:17]
	v_mul_f64 v[16:17], v[26:27], v[34:35]
	v_add_f64 v[166:167], v[110:111], v[102:103]
	v_fma_f64 v[104:105], v[24:25], v[32:33], -v[16:17]
	s_clause 0x1
	global_load_dwordx4 v[16:19], v116, s[12:13] offset:16
	global_load_dwordx4 v[20:23], v116, s[12:13]
	v_add_f64 v[164:165], v[110:111], -v[102:103]
	v_add_f64 v[128:129], v[112:113], -v[104:105]
	v_add_f64 v[130:131], v[112:113], v[104:105]
	s_waitcnt vmcnt(1)
	v_mul_f64 v[24:25], v[8:9], v[18:19]
	v_fma_f64 v[152:153], v[10:11], v[16:17], v[24:25]
	v_mul_f64 v[10:11], v[10:11], v[18:19]
	v_fma_f64 v[114:115], v[8:9], v[16:17], -v[10:11]
	s_clause 0x1
	global_load_dwordx4 v[8:11], v116, s[12:13] offset:224
	global_load_dwordx4 v[16:19], v116, s[12:13] offset:240
	s_waitcnt vmcnt(1)
	v_mul_f64 v[24:25], v[12:13], v[10:11]
	v_mul_f64 v[10:11], v[14:15], v[10:11]
	v_fma_f64 v[116:117], v[14:15], v[8:9], v[24:25]
	v_fma_f64 v[118:119], v[12:13], v[8:9], -v[10:11]
	v_mul_f64 v[8:9], v[4:5], v[22:23]
	v_add_f64 v[158:159], v[152:153], v[116:117]
	v_add_f64 v[124:125], v[114:115], -v[118:119]
	v_fma_f64 v[156:157], v[6:7], v[20:21], v[8:9]
	v_mul_f64 v[6:7], v[6:7], v[22:23]
	v_add_f64 v[160:161], v[152:153], -v[116:117]
	v_add_f64 v[126:127], v[114:115], v[118:119]
	v_mul_f64 v[10:11], v[158:159], s[36:37]
	v_fma_f64 v[154:155], v[4:5], v[20:21], -v[6:7]
	s_waitcnt vmcnt(0)
	v_mul_f64 v[4:5], v[48:49], v[18:19]
	v_mul_f64 v[14:15], v[160:161], s[54:55]
	v_fma_f64 v[6:7], v[124:125], s[40:41], v[10:11]
	v_fma_f64 v[10:11], v[124:125], s[54:55], v[10:11]
	v_fma_f64 v[120:121], v[50:51], v[16:17], v[4:5]
	v_mul_f64 v[4:5], v[50:51], v[18:19]
	v_add_f64 v[190:191], v[156:157], v[120:121]
	v_fma_f64 v[122:123], v[48:49], v[16:17], -v[4:5]
	v_add_f64 v[192:193], v[156:157], -v[120:121]
	v_fma_f64 v[16:17], v[126:127], s[36:37], v[14:15]
	v_mul_f64 v[48:49], v[184:185], s[50:51]
	v_add_f64 v[156:157], v[2:3], v[156:157]
	v_mul_f64 v[184:185], v[184:185], s[38:39]
	v_mul_f64 v[8:9], v[190:191], s[0:1]
	v_add_f64 v[162:163], v[154:155], -v[122:123]
	v_add_f64 v[188:189], v[154:155], v[122:123]
	v_mul_f64 v[12:13], v[192:193], s[38:39]
	v_add_f64 v[154:155], v[0:1], v[154:155]
	v_add_f64 v[152:153], v[156:157], v[152:153]
	v_fma_f64 v[4:5], v[162:163], s[4:5], v[8:9]
	v_fma_f64 v[8:9], v[162:163], s[38:39], v[8:9]
	v_add_f64 v[114:115], v[154:155], v[114:115]
	v_add_f64 v[110:111], v[152:153], v[110:111]
	;; [unrolled: 1-line block ×7, first 2 shown]
	v_fma_f64 v[6:7], v[188:189], s[0:1], v[12:13]
	v_add_f64 v[8:9], v[10:11], v[8:9]
	v_fma_f64 v[10:11], v[188:189], s[0:1], -v[12:13]
	v_fma_f64 v[12:13], v[126:127], s[36:37], -v[14:15]
	;; [unrolled: 1-line block ×3, first 2 shown]
	v_add_f64 v[108:109], v[112:113], v[108:109]
	v_add_f64 v[94:95], v[106:107], v[94:95]
	;; [unrolled: 1-line block ×7, first 2 shown]
	v_mul_f64 v[16:17], v[166:167], s[6:7]
	v_add_f64 v[10:11], v[12:13], v[10:11]
	v_add_f64 v[84:85], v[96:97], v[84:85]
	;; [unrolled: 1-line block ×3, first 2 shown]
	v_fma_f64 v[18:19], v[128:129], s[8:9], v[16:17]
	v_fma_f64 v[12:13], v[128:129], s[42:43], v[16:17]
	v_mul_f64 v[16:17], v[190:191], s[6:7]
	v_add_f64 v[62:63], v[84:85], v[62:63]
	v_add_f64 v[74:75], v[78:79], v[74:75]
	;; [unrolled: 1-line block ×3, first 2 shown]
	v_mul_f64 v[18:19], v[164:165], s[42:43]
	v_add_f64 v[8:9], v[12:13], v[8:9]
	v_add_f64 v[62:63], v[62:63], v[64:65]
	;; [unrolled: 1-line block ×3, first 2 shown]
	v_fma_f64 v[20:21], v[130:131], s[6:7], v[18:19]
	v_fma_f64 v[12:13], v[130:131], s[6:7], -v[18:19]
	v_mul_f64 v[18:19], v[158:159], s[22:23]
	v_add_f64 v[62:63], v[62:63], v[76:77]
	v_add_f64 v[60:61], v[64:65], v[60:61]
	;; [unrolled: 1-line block ×3, first 2 shown]
	v_mul_f64 v[20:21], v[170:171], s[16:17]
	v_add_f64 v[10:11], v[12:13], v[10:11]
	v_add_f64 v[62:63], v[62:63], v[80:81]
	;; [unrolled: 1-line block ×3, first 2 shown]
	v_fma_f64 v[22:23], v[132:133], s[44:45], v[20:21]
	v_fma_f64 v[12:13], v[132:133], s[20:21], v[20:21]
	v_mul_f64 v[20:21], v[192:193], s[42:43]
	v_add_f64 v[62:63], v[62:63], v[88:89]
	v_add_f64 v[60:61], v[60:61], v[90:91]
	;; [unrolled: 1-line block ×3, first 2 shown]
	v_mul_f64 v[22:23], v[168:169], s[20:21]
	v_add_f64 v[8:9], v[12:13], v[8:9]
	v_add_f64 v[62:63], v[62:63], v[92:93]
	;; [unrolled: 1-line block ×3, first 2 shown]
	v_fma_f64 v[24:25], v[134:135], s[16:17], v[22:23]
	v_fma_f64 v[12:13], v[134:135], s[16:17], -v[22:23]
	v_mul_f64 v[22:23], v[160:161], s[28:29]
	v_add_f64 v[62:63], v[62:63], v[100:101]
	v_add_f64 v[60:61], v[60:61], v[102:103]
	;; [unrolled: 1-line block ×3, first 2 shown]
	v_mul_f64 v[24:25], v[174:175], s[14:15]
	v_add_f64 v[10:11], v[12:13], v[10:11]
	v_add_f64 v[62:63], v[62:63], v[104:105]
	;; [unrolled: 1-line block ×3, first 2 shown]
	v_fma_f64 v[26:27], v[136:137], s[18:19], v[24:25]
	v_fma_f64 v[12:13], v[136:137], s[46:47], v[24:25]
	;; [unrolled: 1-line block ×3, first 2 shown]
	v_add_f64 v[64:65], v[62:63], v[118:119]
	v_add_f64 v[62:63], v[60:61], v[120:121]
	;; [unrolled: 1-line block ×3, first 2 shown]
	v_mul_f64 v[26:27], v[172:173], s[46:47]
	v_add_f64 v[8:9], v[12:13], v[8:9]
	v_add_f64 v[60:61], v[64:65], v[122:123]
	v_fma_f64 v[28:29], v[138:139], s[14:15], v[26:27]
	v_fma_f64 v[12:13], v[138:139], s[14:15], -v[26:27]
	v_add_f64 v[6:7], v[28:29], v[6:7]
	v_mul_f64 v[28:29], v[178:179], s[22:23]
	v_add_f64 v[10:11], v[12:13], v[10:11]
	v_fma_f64 v[30:31], v[140:141], s[48:49], v[28:29]
	v_fma_f64 v[12:13], v[140:141], s[28:29], v[28:29]
	v_add_f64 v[4:5], v[30:31], v[4:5]
	v_mul_f64 v[30:31], v[176:177], s[28:29]
	v_add_f64 v[8:9], v[12:13], v[8:9]
	v_fma_f64 v[32:33], v[142:143], s[22:23], v[30:31]
	v_fma_f64 v[12:13], v[142:143], s[22:23], -v[30:31]
	v_add_f64 v[6:7], v[32:33], v[6:7]
	v_mul_f64 v[32:33], v[186:187], s[24:25]
	v_add_f64 v[10:11], v[12:13], v[10:11]
	v_fma_f64 v[34:35], v[144:145], s[26:27], v[32:33]
	v_fma_f64 v[12:13], v[144:145], s[50:51], v[32:33]
	v_add_f64 v[4:5], v[34:35], v[4:5]
	v_mul_f64 v[34:35], v[180:181], s[50:51]
	v_add_f64 v[8:9], v[12:13], v[8:9]
	v_fma_f64 v[12:13], v[146:147], s[24:25], -v[34:35]
	v_fma_f64 v[36:37], v[146:147], s[24:25], v[34:35]
	v_add_f64 v[12:13], v[12:13], v[10:11]
	v_fma_f64 v[10:11], v[148:149], s[34:35], v[38:39]
	v_add_f64 v[36:37], v[36:37], v[6:7]
	v_fma_f64 v[6:7], v[148:149], s[52:53], v[38:39]
	v_add_f64 v[10:11], v[10:11], v[8:9]
	v_add_f64 v[8:9], v[14:15], v[12:13]
	v_fma_f64 v[12:13], v[162:163], s[8:9], v[16:17]
	v_fma_f64 v[14:15], v[124:125], s[48:49], v[18:19]
	;; [unrolled: 1-line block ×4, first 2 shown]
	v_add_f64 v[6:7], v[6:7], v[4:5]
	v_fma_f64 v[4:5], v[150:151], s[30:31], v[40:41]
	v_add_f64 v[12:13], v[2:3], v[12:13]
	v_add_f64 v[16:17], v[2:3], v[16:17]
	;; [unrolled: 1-line block ×4, first 2 shown]
	v_fma_f64 v[14:15], v[188:189], s[6:7], v[20:21]
	v_add_f64 v[16:17], v[18:19], v[16:17]
	v_fma_f64 v[18:19], v[188:189], s[6:7], -v[20:21]
	v_fma_f64 v[20:21], v[126:127], s[22:23], -v[22:23]
	;; [unrolled: 1-line block ×3, first 2 shown]
	v_add_f64 v[14:15], v[0:1], v[14:15]
	v_add_f64 v[18:19], v[0:1], v[18:19]
	;; [unrolled: 1-line block ×3, first 2 shown]
	v_mul_f64 v[24:25], v[166:167], s[30:31]
	v_add_f64 v[18:19], v[20:21], v[18:19]
	v_fma_f64 v[26:27], v[128:129], s[34:35], v[24:25]
	v_fma_f64 v[20:21], v[128:129], s[52:53], v[24:25]
	v_mul_f64 v[24:25], v[190:191], s[14:15]
	v_add_f64 v[12:13], v[26:27], v[12:13]
	v_mul_f64 v[26:27], v[164:165], s[52:53]
	v_add_f64 v[16:17], v[20:21], v[16:17]
	v_fma_f64 v[28:29], v[130:131], s[30:31], v[26:27]
	v_fma_f64 v[20:21], v[130:131], s[30:31], -v[26:27]
	v_mul_f64 v[26:27], v[158:159], s[24:25]
	v_add_f64 v[14:15], v[28:29], v[14:15]
	v_mul_f64 v[28:29], v[170:171], s[14:15]
	v_add_f64 v[18:19], v[20:21], v[18:19]
	v_fma_f64 v[30:31], v[132:133], s[46:47], v[28:29]
	v_fma_f64 v[20:21], v[132:133], s[18:19], v[28:29]
	v_mul_f64 v[28:29], v[192:193], s[46:47]
	v_add_f64 v[12:13], v[30:31], v[12:13]
	v_mul_f64 v[30:31], v[168:169], s[18:19]
	v_add_f64 v[16:17], v[20:21], v[16:17]
	v_fma_f64 v[32:33], v[134:135], s[14:15], v[30:31]
	v_fma_f64 v[20:21], v[134:135], s[14:15], -v[30:31]
	v_mul_f64 v[30:31], v[160:161], s[26:27]
	v_add_f64 v[14:15], v[32:33], v[14:15]
	v_mul_f64 v[32:33], v[174:175], s[36:37]
	v_add_f64 v[18:19], v[20:21], v[18:19]
	v_fma_f64 v[34:35], v[136:137], s[54:55], v[32:33]
	v_fma_f64 v[20:21], v[136:137], s[40:41], v[32:33]
	;; [unrolled: 1-line block ×3, first 2 shown]
	v_add_f64 v[12:13], v[34:35], v[12:13]
	v_mul_f64 v[34:35], v[172:173], s[40:41]
	v_add_f64 v[16:17], v[20:21], v[16:17]
	v_fma_f64 v[36:37], v[138:139], s[36:37], v[34:35]
	v_fma_f64 v[20:21], v[138:139], s[36:37], -v[34:35]
	v_add_f64 v[14:15], v[36:37], v[14:15]
	v_mul_f64 v[36:37], v[178:179], s[0:1]
	v_add_f64 v[18:19], v[20:21], v[18:19]
	v_fma_f64 v[38:39], v[140:141], s[4:5], v[36:37]
	v_fma_f64 v[20:21], v[140:141], s[38:39], v[36:37]
	v_add_f64 v[12:13], v[38:39], v[12:13]
	v_mul_f64 v[38:39], v[176:177], s[38:39]
	v_add_f64 v[16:17], v[20:21], v[16:17]
	v_fma_f64 v[40:41], v[142:143], s[0:1], v[38:39]
	v_fma_f64 v[20:21], v[142:143], s[0:1], -v[38:39]
	v_add_f64 v[14:15], v[40:41], v[14:15]
	v_mul_f64 v[40:41], v[186:187], s[16:17]
	v_add_f64 v[18:19], v[20:21], v[18:19]
	v_fma_f64 v[42:43], v[144:145], s[44:45], v[40:41]
	v_fma_f64 v[20:21], v[144:145], s[20:21], v[40:41]
	v_add_f64 v[12:13], v[42:43], v[12:13]
	v_mul_f64 v[42:43], v[180:181], s[20:21]
	v_add_f64 v[16:17], v[20:21], v[16:17]
	v_fma_f64 v[20:21], v[146:147], s[16:17], -v[42:43]
	v_fma_f64 v[44:45], v[146:147], s[16:17], v[42:43]
	v_add_f64 v[20:21], v[20:21], v[18:19]
	v_fma_f64 v[18:19], v[148:149], s[50:51], v[46:47]
	v_add_f64 v[44:45], v[44:45], v[14:15]
	;; [unrolled: 2-line block ×3, first 2 shown]
	v_add_f64 v[16:17], v[22:23], v[20:21]
	v_fma_f64 v[20:21], v[162:163], s[18:19], v[24:25]
	v_fma_f64 v[22:23], v[124:125], s[50:51], v[26:27]
	;; [unrolled: 1-line block ×4, first 2 shown]
	v_add_f64 v[14:15], v[14:15], v[12:13]
	v_fma_f64 v[12:13], v[150:151], s[24:25], v[48:49]
	v_add_f64 v[20:21], v[2:3], v[20:21]
	v_add_f64 v[24:25], v[2:3], v[24:25]
	;; [unrolled: 1-line block ×4, first 2 shown]
	v_fma_f64 v[22:23], v[188:189], s[14:15], v[28:29]
	v_add_f64 v[24:25], v[26:27], v[24:25]
	v_fma_f64 v[26:27], v[188:189], s[14:15], -v[28:29]
	v_fma_f64 v[28:29], v[126:127], s[24:25], -v[30:31]
	v_fma_f64 v[30:31], v[150:151], s[22:23], -v[56:57]
	v_add_f64 v[22:23], v[0:1], v[22:23]
	v_add_f64 v[26:27], v[0:1], v[26:27]
	;; [unrolled: 1-line block ×3, first 2 shown]
	v_mul_f64 v[32:33], v[166:167], s[36:37]
	v_add_f64 v[26:27], v[28:29], v[26:27]
	v_fma_f64 v[34:35], v[128:129], s[54:55], v[32:33]
	v_fma_f64 v[28:29], v[128:129], s[40:41], v[32:33]
	v_mul_f64 v[32:33], v[190:191], s[24:25]
	v_add_f64 v[20:21], v[34:35], v[20:21]
	v_mul_f64 v[34:35], v[164:165], s[40:41]
	v_add_f64 v[24:25], v[28:29], v[24:25]
	v_fma_f64 v[36:37], v[130:131], s[36:37], v[34:35]
	v_fma_f64 v[28:29], v[130:131], s[36:37], -v[34:35]
	v_mul_f64 v[34:35], v[158:159], s[6:7]
	v_add_f64 v[22:23], v[36:37], v[22:23]
	v_mul_f64 v[36:37], v[170:171], s[6:7]
	v_add_f64 v[26:27], v[28:29], v[26:27]
	v_fma_f64 v[38:39], v[132:133], s[8:9], v[36:37]
	v_fma_f64 v[28:29], v[132:133], s[42:43], v[36:37]
	v_mul_f64 v[36:37], v[192:193], s[50:51]
	v_add_f64 v[20:21], v[38:39], v[20:21]
	v_mul_f64 v[38:39], v[168:169], s[42:43]
	v_add_f64 v[24:25], v[28:29], v[24:25]
	v_fma_f64 v[40:41], v[134:135], s[6:7], v[38:39]
	v_fma_f64 v[28:29], v[134:135], s[6:7], -v[38:39]
	v_mul_f64 v[38:39], v[160:161], s[8:9]
	v_add_f64 v[22:23], v[40:41], v[22:23]
	v_mul_f64 v[40:41], v[174:175], s[30:31]
	v_add_f64 v[26:27], v[28:29], v[26:27]
	v_fma_f64 v[42:43], v[136:137], s[52:53], v[40:41]
	v_fma_f64 v[28:29], v[136:137], s[34:35], v[40:41]
	;; [unrolled: 1-line block ×3, first 2 shown]
	v_add_f64 v[20:21], v[42:43], v[20:21]
	v_mul_f64 v[42:43], v[172:173], s[34:35]
	v_add_f64 v[24:25], v[28:29], v[24:25]
	v_fma_f64 v[44:45], v[138:139], s[30:31], v[42:43]
	v_fma_f64 v[28:29], v[138:139], s[30:31], -v[42:43]
	v_add_f64 v[22:23], v[44:45], v[22:23]
	v_mul_f64 v[44:45], v[178:179], s[16:17]
	v_add_f64 v[26:27], v[28:29], v[26:27]
	v_fma_f64 v[46:47], v[140:141], s[20:21], v[44:45]
	v_fma_f64 v[28:29], v[140:141], s[44:45], v[44:45]
	v_add_f64 v[20:21], v[46:47], v[20:21]
	v_mul_f64 v[46:47], v[176:177], s[44:45]
	v_add_f64 v[24:25], v[28:29], v[24:25]
	v_fma_f64 v[48:49], v[142:143], s[16:17], v[46:47]
	v_fma_f64 v[28:29], v[142:143], s[16:17], -v[46:47]
	v_add_f64 v[22:23], v[48:49], v[22:23]
	v_mul_f64 v[48:49], v[186:187], s[0:1]
	v_add_f64 v[26:27], v[28:29], v[26:27]
	v_fma_f64 v[50:51], v[144:145], s[4:5], v[48:49]
	v_fma_f64 v[28:29], v[144:145], s[38:39], v[48:49]
	v_add_f64 v[20:21], v[50:51], v[20:21]
	v_mul_f64 v[50:51], v[180:181], s[38:39]
	v_add_f64 v[24:25], v[28:29], v[24:25]
	v_fma_f64 v[28:29], v[146:147], s[0:1], -v[50:51]
	v_fma_f64 v[52:53], v[146:147], s[0:1], v[50:51]
	v_add_f64 v[28:29], v[28:29], v[26:27]
	v_fma_f64 v[26:27], v[148:149], s[28:29], v[54:55]
	v_add_f64 v[52:53], v[52:53], v[22:23]
	;; [unrolled: 2-line block ×3, first 2 shown]
	v_add_f64 v[24:25], v[30:31], v[28:29]
	v_fma_f64 v[28:29], v[162:163], s[26:27], v[32:33]
	v_fma_f64 v[30:31], v[124:125], s[42:43], v[34:35]
	;; [unrolled: 1-line block ×4, first 2 shown]
	v_add_f64 v[22:23], v[22:23], v[20:21]
	v_fma_f64 v[20:21], v[150:151], s[22:23], v[56:57]
	v_add_f64 v[28:29], v[2:3], v[28:29]
	v_add_f64 v[32:33], v[2:3], v[32:33]
	;; [unrolled: 1-line block ×4, first 2 shown]
	v_fma_f64 v[30:31], v[188:189], s[24:25], v[36:37]
	v_add_f64 v[32:33], v[34:35], v[32:33]
	v_fma_f64 v[34:35], v[188:189], s[24:25], -v[36:37]
	v_fma_f64 v[36:37], v[126:127], s[6:7], -v[38:39]
	;; [unrolled: 1-line block ×3, first 2 shown]
	v_add_f64 v[30:31], v[0:1], v[30:31]
	v_add_f64 v[34:35], v[0:1], v[34:35]
	;; [unrolled: 1-line block ×3, first 2 shown]
	v_mul_f64 v[40:41], v[166:167], s[16:17]
	v_add_f64 v[34:35], v[36:37], v[34:35]
	v_fma_f64 v[42:43], v[128:129], s[44:45], v[40:41]
	v_fma_f64 v[36:37], v[128:129], s[20:21], v[40:41]
	v_mul_f64 v[40:41], v[190:191], s[30:31]
	v_add_f64 v[28:29], v[42:43], v[28:29]
	v_mul_f64 v[42:43], v[164:165], s[20:21]
	v_add_f64 v[32:33], v[36:37], v[32:33]
	v_fma_f64 v[44:45], v[130:131], s[16:17], v[42:43]
	v_fma_f64 v[36:37], v[130:131], s[16:17], -v[42:43]
	v_mul_f64 v[42:43], v[158:159], s[0:1]
	v_add_f64 v[30:31], v[44:45], v[30:31]
	v_mul_f64 v[44:45], v[170:171], s[22:23]
	v_add_f64 v[34:35], v[36:37], v[34:35]
	v_fma_f64 v[46:47], v[132:133], s[28:29], v[44:45]
	v_fma_f64 v[36:37], v[132:133], s[48:49], v[44:45]
	v_mul_f64 v[44:45], v[192:193], s[52:53]
	v_add_f64 v[28:29], v[46:47], v[28:29]
	v_mul_f64 v[46:47], v[168:169], s[48:49]
	v_add_f64 v[32:33], v[36:37], v[32:33]
	v_fma_f64 v[48:49], v[134:135], s[22:23], v[46:47]
	v_fma_f64 v[36:37], v[134:135], s[22:23], -v[46:47]
	v_mul_f64 v[46:47], v[160:161], s[38:39]
	v_add_f64 v[30:31], v[48:49], v[30:31]
	v_mul_f64 v[48:49], v[174:175], s[0:1]
	v_add_f64 v[34:35], v[36:37], v[34:35]
	v_fma_f64 v[50:51], v[136:137], s[4:5], v[48:49]
	v_fma_f64 v[36:37], v[136:137], s[38:39], v[48:49]
	;; [unrolled: 1-line block ×3, first 2 shown]
	v_add_f64 v[28:29], v[50:51], v[28:29]
	v_mul_f64 v[50:51], v[172:173], s[38:39]
	v_add_f64 v[32:33], v[36:37], v[32:33]
	v_fma_f64 v[52:53], v[138:139], s[0:1], v[50:51]
	v_fma_f64 v[36:37], v[138:139], s[0:1], -v[50:51]
	v_add_f64 v[30:31], v[52:53], v[30:31]
	v_mul_f64 v[52:53], v[178:179], s[30:31]
	v_add_f64 v[34:35], v[36:37], v[34:35]
	v_fma_f64 v[54:55], v[140:141], s[52:53], v[52:53]
	v_fma_f64 v[36:37], v[140:141], s[34:35], v[52:53]
	v_add_f64 v[28:29], v[54:55], v[28:29]
	v_mul_f64 v[54:55], v[176:177], s[34:35]
	v_add_f64 v[32:33], v[36:37], v[32:33]
	v_fma_f64 v[56:57], v[142:143], s[30:31], v[54:55]
	v_fma_f64 v[36:37], v[142:143], s[30:31], -v[54:55]
	v_add_f64 v[30:31], v[56:57], v[30:31]
	v_mul_f64 v[56:57], v[186:187], s[36:37]
	v_add_f64 v[34:35], v[36:37], v[34:35]
	v_fma_f64 v[58:59], v[144:145], s[54:55], v[56:57]
	v_fma_f64 v[36:37], v[144:145], s[40:41], v[56:57]
	v_add_f64 v[28:29], v[58:59], v[28:29]
	v_mul_f64 v[58:59], v[180:181], s[40:41]
	v_add_f64 v[32:33], v[36:37], v[32:33]
	v_fma_f64 v[36:37], v[146:147], s[36:37], -v[58:59]
	v_fma_f64 v[197:198], v[146:147], s[36:37], v[58:59]
	v_add_f64 v[36:37], v[36:37], v[34:35]
	v_fma_f64 v[34:35], v[148:149], s[46:47], v[199:200]
	v_add_f64 v[197:198], v[197:198], v[30:31]
	v_fma_f64 v[30:31], v[148:149], s[18:19], v[199:200]
	v_add_f64 v[34:35], v[34:35], v[32:33]
	v_add_f64 v[32:33], v[38:39], v[36:37]
	v_fma_f64 v[36:37], v[162:163], s[34:35], v[40:41]
	v_fma_f64 v[38:39], v[124:125], s[4:5], v[42:43]
	;; [unrolled: 1-line block ×4, first 2 shown]
	v_add_f64 v[30:31], v[30:31], v[28:29]
	v_fma_f64 v[28:29], v[150:151], s[14:15], v[201:202]
	v_add_f64 v[36:37], v[2:3], v[36:37]
	v_add_f64 v[40:41], v[2:3], v[40:41]
	;; [unrolled: 1-line block ×4, first 2 shown]
	v_fma_f64 v[38:39], v[188:189], s[30:31], v[44:45]
	v_add_f64 v[40:41], v[42:43], v[40:41]
	v_fma_f64 v[42:43], v[188:189], s[30:31], -v[44:45]
	v_fma_f64 v[44:45], v[126:127], s[0:1], -v[46:47]
	v_fma_f64 v[46:47], v[150:151], s[16:17], -v[209:210]
	v_add_f64 v[38:39], v[0:1], v[38:39]
	v_add_f64 v[42:43], v[0:1], v[42:43]
	;; [unrolled: 1-line block ×3, first 2 shown]
	v_mul_f64 v[48:49], v[166:167], s[24:25]
	v_add_f64 v[42:43], v[44:45], v[42:43]
	v_fma_f64 v[50:51], v[128:129], s[50:51], v[48:49]
	v_fma_f64 v[44:45], v[128:129], s[26:27], v[48:49]
	v_mul_f64 v[48:49], v[190:191], s[22:23]
	v_add_f64 v[36:37], v[50:51], v[36:37]
	v_mul_f64 v[50:51], v[164:165], s[26:27]
	v_add_f64 v[40:41], v[44:45], v[40:41]
	v_fma_f64 v[52:53], v[130:131], s[24:25], v[50:51]
	v_fma_f64 v[44:45], v[130:131], s[24:25], -v[50:51]
	v_mul_f64 v[50:51], v[158:159], s[14:15]
	v_add_f64 v[38:39], v[52:53], v[38:39]
	v_mul_f64 v[52:53], v[170:171], s[36:37]
	v_add_f64 v[42:43], v[44:45], v[42:43]
	v_fma_f64 v[54:55], v[132:133], s[40:41], v[52:53]
	v_fma_f64 v[44:45], v[132:133], s[54:55], v[52:53]
	v_mul_f64 v[52:53], v[192:193], s[48:49]
	v_add_f64 v[36:37], v[54:55], v[36:37]
	v_mul_f64 v[54:55], v[168:169], s[54:55]
	v_add_f64 v[40:41], v[44:45], v[40:41]
	v_fma_f64 v[56:57], v[134:135], s[36:37], v[54:55]
	v_fma_f64 v[44:45], v[134:135], s[36:37], -v[54:55]
	v_mul_f64 v[54:55], v[160:161], s[46:47]
	v_add_f64 v[38:39], v[56:57], v[38:39]
	v_mul_f64 v[56:57], v[174:175], s[22:23]
	v_add_f64 v[42:43], v[44:45], v[42:43]
	v_fma_f64 v[58:59], v[136:137], s[28:29], v[56:57]
	v_fma_f64 v[44:45], v[136:137], s[48:49], v[56:57]
	;; [unrolled: 1-line block ×3, first 2 shown]
	v_add_f64 v[36:37], v[58:59], v[36:37]
	v_mul_f64 v[58:59], v[172:173], s[48:49]
	v_add_f64 v[40:41], v[44:45], v[40:41]
	v_fma_f64 v[197:198], v[138:139], s[22:23], v[58:59]
	v_fma_f64 v[44:45], v[138:139], s[22:23], -v[58:59]
	v_add_f64 v[38:39], v[197:198], v[38:39]
	v_mul_f64 v[197:198], v[178:179], s[6:7]
	v_add_f64 v[42:43], v[44:45], v[42:43]
	v_fma_f64 v[199:200], v[140:141], s[8:9], v[197:198]
	v_fma_f64 v[44:45], v[140:141], s[42:43], v[197:198]
	v_add_f64 v[36:37], v[199:200], v[36:37]
	v_mul_f64 v[199:200], v[176:177], s[42:43]
	v_add_f64 v[40:41], v[44:45], v[40:41]
	v_fma_f64 v[201:202], v[142:143], s[6:7], v[199:200]
	v_fma_f64 v[44:45], v[142:143], s[6:7], -v[199:200]
	v_add_f64 v[38:39], v[201:202], v[38:39]
	v_mul_f64 v[201:202], v[186:187], s[14:15]
	v_add_f64 v[42:43], v[44:45], v[42:43]
	v_fma_f64 v[203:204], v[144:145], s[46:47], v[201:202]
	v_fma_f64 v[44:45], v[144:145], s[18:19], v[201:202]
	v_add_f64 v[36:37], v[203:204], v[36:37]
	v_mul_f64 v[203:204], v[180:181], s[18:19]
	v_add_f64 v[40:41], v[44:45], v[40:41]
	v_fma_f64 v[44:45], v[146:147], s[14:15], -v[203:204]
	v_fma_f64 v[205:206], v[146:147], s[14:15], v[203:204]
	v_add_f64 v[44:45], v[44:45], v[42:43]
	v_fma_f64 v[42:43], v[148:149], s[20:21], v[207:208]
	v_add_f64 v[205:206], v[205:206], v[38:39]
	;; [unrolled: 2-line block ×3, first 2 shown]
	v_add_f64 v[40:41], v[46:47], v[44:45]
	v_fma_f64 v[44:45], v[162:163], s[28:29], v[48:49]
	v_fma_f64 v[46:47], v[124:125], s[18:19], v[50:51]
	;; [unrolled: 1-line block ×4, first 2 shown]
	v_add_f64 v[38:39], v[38:39], v[36:37]
	v_fma_f64 v[36:37], v[150:151], s[16:17], v[209:210]
	v_add_f64 v[44:45], v[2:3], v[44:45]
	v_add_f64 v[48:49], v[2:3], v[48:49]
	;; [unrolled: 1-line block ×4, first 2 shown]
	v_fma_f64 v[46:47], v[188:189], s[22:23], v[52:53]
	v_add_f64 v[48:49], v[50:51], v[48:49]
	v_add_f64 v[46:47], v[0:1], v[46:47]
	;; [unrolled: 1-line block ×3, first 2 shown]
	v_mul_f64 v[56:57], v[166:167], s[0:1]
	v_fma_f64 v[58:59], v[128:129], s[38:39], v[56:57]
	v_fma_f64 v[50:51], v[128:129], s[4:5], v[56:57]
	v_mul_f64 v[56:57], v[190:191], s[16:17]
	v_mul_f64 v[190:191], v[190:191], s[36:37]
	v_add_f64 v[44:45], v[58:59], v[44:45]
	v_mul_f64 v[58:59], v[164:165], s[4:5]
	v_add_f64 v[48:49], v[50:51], v[48:49]
	v_fma_f64 v[197:198], v[130:131], s[0:1], v[58:59]
	v_add_f64 v[46:47], v[197:198], v[46:47]
	v_mul_f64 v[197:198], v[170:171], s[24:25]
	v_fma_f64 v[199:200], v[132:133], s[50:51], v[197:198]
	v_fma_f64 v[50:51], v[132:133], s[26:27], v[197:198]
	v_mul_f64 v[197:198], v[166:167], s[14:15]
	v_add_f64 v[44:45], v[199:200], v[44:45]
	v_mul_f64 v[199:200], v[168:169], s[26:27]
	v_add_f64 v[48:49], v[50:51], v[48:49]
	v_fma_f64 v[201:202], v[134:135], s[24:25], v[199:200]
	v_add_f64 v[46:47], v[201:202], v[46:47]
	v_mul_f64 v[201:202], v[174:175], s[16:17]
	v_fma_f64 v[203:204], v[136:137], s[44:45], v[201:202]
	v_fma_f64 v[50:51], v[136:137], s[20:21], v[201:202]
	v_mul_f64 v[201:202], v[174:175], s[6:7]
	v_add_f64 v[44:45], v[203:204], v[44:45]
	v_mul_f64 v[203:204], v[178:179], s[36:37]
	v_add_f64 v[48:49], v[50:51], v[48:49]
	v_fma_f64 v[205:206], v[140:141], s[54:55], v[203:204]
	v_fma_f64 v[50:51], v[140:141], s[40:41], v[203:204]
	v_mul_f64 v[203:204], v[178:179], s[24:25]
	v_add_f64 v[44:45], v[205:206], v[44:45]
	v_mul_f64 v[205:206], v[186:187], s[30:31]
	v_add_f64 v[48:49], v[50:51], v[48:49]
	v_fma_f64 v[50:51], v[144:145], s[52:53], v[205:206]
	v_fma_f64 v[207:208], v[144:145], s[34:35], v[205:206]
	v_mul_f64 v[205:206], v[186:187], s[22:23]
	v_add_f64 v[48:49], v[50:51], v[48:49]
	v_fma_f64 v[50:51], v[188:189], s[22:23], -v[52:53]
	v_add_f64 v[44:45], v[207:208], v[44:45]
	v_mul_f64 v[207:208], v[172:173], s[20:21]
	v_fma_f64 v[52:53], v[126:127], s[14:15], -v[54:55]
	v_fma_f64 v[54:55], v[150:151], s[6:7], -v[217:218]
	v_add_f64 v[50:51], v[0:1], v[50:51]
	v_fma_f64 v[209:210], v[138:139], s[16:17], v[207:208]
	v_add_f64 v[50:51], v[52:53], v[50:51]
	v_fma_f64 v[52:53], v[130:131], s[0:1], -v[58:59]
	v_add_f64 v[46:47], v[209:210], v[46:47]
	v_mul_f64 v[209:210], v[176:177], s[40:41]
	v_mul_f64 v[58:59], v[158:159], s[30:31]
	;; [unrolled: 1-line block ×3, first 2 shown]
	v_add_f64 v[50:51], v[52:53], v[50:51]
	v_fma_f64 v[52:53], v[134:135], s[24:25], -v[199:200]
	v_fma_f64 v[211:212], v[142:143], s[36:37], v[209:210]
	v_mul_f64 v[199:200], v[170:171], s[0:1]
	v_fma_f64 v[64:65], v[124:125], s[20:21], v[158:159]
	v_add_f64 v[50:51], v[52:53], v[50:51]
	v_fma_f64 v[52:53], v[138:139], s[16:17], -v[207:208]
	v_add_f64 v[46:47], v[211:212], v[46:47]
	v_mul_f64 v[211:212], v[180:181], s[52:53]
	v_mul_f64 v[207:208], v[192:193], s[44:45]
	v_add_f64 v[50:51], v[52:53], v[50:51]
	v_fma_f64 v[52:53], v[142:143], s[36:37], -v[209:210]
	v_fma_f64 v[213:214], v[146:147], s[30:31], v[211:212]
	v_mul_f64 v[209:210], v[160:161], s[52:53]
	v_mul_f64 v[160:161], v[160:161], s[44:45]
	v_add_f64 v[50:51], v[52:53], v[50:51]
	v_fma_f64 v[52:53], v[146:147], s[30:31], -v[211:212]
	v_add_f64 v[213:214], v[213:214], v[46:47]
	v_fma_f64 v[46:47], v[148:149], s[8:9], v[215:216]
	v_fma_f64 v[211:212], v[126:127], s[30:31], v[209:210]
	;; [unrolled: 1-line block ×3, first 2 shown]
	v_add_f64 v[52:53], v[52:53], v[50:51]
	v_fma_f64 v[50:51], v[148:149], s[42:43], v[215:216]
	v_add_f64 v[46:47], v[46:47], v[44:45]
	v_fma_f64 v[44:45], v[150:151], s[6:7], v[217:218]
	v_add_f64 v[50:51], v[50:51], v[48:49]
	v_add_f64 v[48:49], v[54:55], v[52:53]
	v_fma_f64 v[52:53], v[162:163], s[20:21], v[56:57]
	v_fma_f64 v[54:55], v[124:125], s[34:35], v[58:59]
	;; [unrolled: 1-line block ×4, first 2 shown]
	v_add_f64 v[44:45], v[44:45], v[213:214]
	v_add_f64 v[52:53], v[2:3], v[52:53]
	;; [unrolled: 1-line block ×4, first 2 shown]
	v_fma_f64 v[54:55], v[128:129], s[18:19], v[197:198]
	v_add_f64 v[56:57], v[58:59], v[56:57]
	v_fma_f64 v[58:59], v[128:129], s[46:47], v[197:198]
	v_fma_f64 v[197:198], v[126:127], s[30:31], -v[209:210]
	v_add_f64 v[52:53], v[54:55], v[52:53]
	v_fma_f64 v[54:55], v[132:133], s[4:5], v[199:200]
	v_add_f64 v[56:57], v[58:59], v[56:57]
	v_fma_f64 v[58:59], v[132:133], s[38:39], v[199:200]
	v_fma_f64 v[199:200], v[150:151], s[36:37], -v[225:226]
	v_add_f64 v[52:53], v[54:55], v[52:53]
	v_fma_f64 v[54:55], v[136:137], s[42:43], v[201:202]
	v_add_f64 v[56:57], v[58:59], v[56:57]
	v_fma_f64 v[58:59], v[136:137], s[8:9], v[201:202]
	;; [unrolled: 2-line block ×7, first 2 shown]
	v_add_f64 v[56:57], v[58:59], v[56:57]
	v_fma_f64 v[58:59], v[188:189], s[16:17], -v[207:208]
	v_add_f64 v[54:55], v[0:1], v[54:55]
	v_add_f64 v[58:59], v[0:1], v[58:59]
	;; [unrolled: 1-line block ×3, first 2 shown]
	v_mul_f64 v[211:212], v[164:165], s[46:47]
	v_add_f64 v[58:59], v[197:198], v[58:59]
	v_mul_f64 v[164:165], v[164:165], s[48:49]
	v_fma_f64 v[213:214], v[130:131], s[14:15], v[211:212]
	v_fma_f64 v[197:198], v[130:131], s[14:15], -v[211:212]
	v_fma_f64 v[76:77], v[130:131], s[22:23], v[164:165]
	v_add_f64 v[54:55], v[213:214], v[54:55]
	v_mul_f64 v[213:214], v[168:169], s[38:39]
	v_add_f64 v[58:59], v[197:198], v[58:59]
	v_mul_f64 v[168:169], v[168:169], s[52:53]
	v_fma_f64 v[215:216], v[134:135], s[0:1], v[213:214]
	v_fma_f64 v[197:198], v[134:135], s[0:1], -v[213:214]
	v_add_f64 v[54:55], v[215:216], v[54:55]
	v_mul_f64 v[215:216], v[172:173], s[8:9]
	v_add_f64 v[58:59], v[197:198], v[58:59]
	v_mul_f64 v[172:173], v[172:173], s[50:51]
	v_fma_f64 v[217:218], v[138:139], s[6:7], v[215:216]
	v_fma_f64 v[197:198], v[138:139], s[6:7], -v[215:216]
	;; [unrolled: 6-line block ×3, first 2 shown]
	v_add_f64 v[54:55], v[219:220], v[54:55]
	v_mul_f64 v[219:220], v[180:181], s[28:29]
	v_add_f64 v[58:59], v[197:198], v[58:59]
	v_mul_f64 v[180:181], v[180:181], s[42:43]
	v_fma_f64 v[197:198], v[146:147], s[22:23], -v[219:220]
	v_fma_f64 v[221:222], v[146:147], s[22:23], v[219:220]
	v_add_f64 v[197:198], v[197:198], v[58:59]
	v_fma_f64 v[58:59], v[148:149], s[54:55], v[223:224]
	v_add_f64 v[221:222], v[221:222], v[54:55]
	;; [unrolled: 2-line block ×3, first 2 shown]
	v_add_f64 v[56:57], v[199:200], v[197:198]
	v_fma_f64 v[197:198], v[162:163], s[54:55], v[190:191]
	v_fma_f64 v[162:163], v[162:163], s[40:41], v[190:191]
	v_mul_f64 v[190:191], v[192:193], s[40:41]
	v_add_f64 v[54:55], v[54:55], v[52:53]
	v_fma_f64 v[52:53], v[150:151], s[36:37], v[225:226]
	v_add_f64 v[162:163], v[2:3], v[162:163]
	v_fma_f64 v[192:193], v[188:189], s[36:37], v[190:191]
	v_fma_f64 v[188:189], v[188:189], s[36:37], -v[190:191]
	v_add_f64 v[190:191], v[2:3], v[197:198]
	v_add_f64 v[52:53], v[52:53], v[221:222]
	;; [unrolled: 1-line block ×4, first 2 shown]
	v_fma_f64 v[0:1], v[124:125], s[44:45], v[158:159]
	v_add_f64 v[64:65], v[64:65], v[190:191]
	v_add_f64 v[66:67], v[66:67], v[192:193]
	;; [unrolled: 1-line block ×3, first 2 shown]
	v_mul_f64 v[162:163], v[166:167], s[22:23]
	v_mul_f64 v[166:167], v[170:171], s[30:31]
	;; [unrolled: 1-line block ×5, first 2 shown]
	v_fma_f64 v[186:187], v[130:131], s[22:23], -v[164:165]
	v_add_f64 v[66:67], v[76:77], v[66:67]
	v_fma_f64 v[2:3], v[128:129], s[48:49], v[162:163]
	v_fma_f64 v[74:75], v[128:129], s[28:29], v[162:163]
	v_fma_f64 v[78:79], v[132:133], s[34:35], v[166:167]
	v_fma_f64 v[76:77], v[136:137], s[26:27], v[170:171]
	v_add_f64 v[0:1], v[2:3], v[0:1]
	v_fma_f64 v[2:3], v[132:133], s[52:53], v[166:167]
	v_add_f64 v[64:65], v[74:75], v[64:65]
	v_fma_f64 v[74:75], v[134:135], s[30:31], v[168:169]
	;; [unrolled: 2-line block ×11, first 2 shown]
	v_add_f64 v[0:1], v[2:3], v[0:1]
	v_fma_f64 v[2:3], v[126:127], s[16:17], -v[160:161]
	v_add_f64 v[64:65], v[78:79], v[64:65]
	v_fma_f64 v[78:79], v[150:151], s[0:1], v[184:185]
	v_add_f64 v[74:75], v[74:75], v[66:67]
	v_add_f64 v[2:3], v[2:3], v[188:189]
	;; [unrolled: 1-line block ×5, first 2 shown]
	v_fma_f64 v[186:187], v[134:135], s[30:31], -v[168:169]
	v_add_f64 v[2:3], v[186:187], v[2:3]
	v_fma_f64 v[186:187], v[138:139], s[24:25], -v[172:173]
	v_add_f64 v[2:3], v[186:187], v[2:3]
	;; [unrolled: 2-line block ×4, first 2 shown]
	v_fma_f64 v[2:3], v[148:149], s[38:39], v[182:183]
	v_add_f64 v[2:3], v[2:3], v[0:1]
	v_fma_f64 v[0:1], v[150:151], s[0:1], -v[184:185]
	v_add_f64 v[0:1], v[0:1], v[186:187]
	ds_write_b128 v195, v[60:63]
	ds_write_b128 v196, v[0:3] offset:256
	ds_write_b128 v196, v[56:59] offset:512
	;; [unrolled: 1-line block ×16, first 2 shown]
.LBB0_16:
	s_or_b32 exec_lo, exec_lo, s33
	s_waitcnt lgkmcnt(0)
	s_barrier
	buffer_gl0_inv
	ds_read_b128 v[0:3], v195
	v_sub_nc_u32_e32 v10, v194, v71
	s_add_u32 s1, s12, 0x1000
	s_addc_u32 s4, s13, 0
	s_mov_b32 s5, exec_lo
                                        ; implicit-def: $vgpr6_vgpr7
                                        ; implicit-def: $vgpr4_vgpr5
                                        ; implicit-def: $vgpr8_vgpr9
	v_cmpx_ne_u32_e32 0, v70
	s_xor_b32 s5, exec_lo, s5
	s_cbranch_execz .LBB0_18
; %bb.17:
	v_mov_b32_e32 v71, 0
	ds_read_b128 v[11:14], v10 offset:4352
	v_lshlrev_b64 v[4:5], 4, v[70:71]
	v_add_co_u32 v4, s0, s1, v4
	v_add_co_ci_u32_e64 v5, s0, s4, v5, s0
	global_load_dwordx4 v[6:9], v[4:5], off
	s_waitcnt lgkmcnt(0)
	v_add_f64 v[4:5], v[0:1], -v[11:12]
	v_add_f64 v[15:16], v[2:3], v[13:14]
	v_add_f64 v[2:3], v[2:3], -v[13:14]
	v_add_f64 v[0:1], v[0:1], v[11:12]
	v_mul_f64 v[4:5], v[4:5], 0.5
	v_mul_f64 v[13:14], v[15:16], 0.5
	;; [unrolled: 1-line block ×3, first 2 shown]
	s_waitcnt vmcnt(0)
	v_mul_f64 v[11:12], v[4:5], v[8:9]
	v_fma_f64 v[15:16], v[13:14], v[8:9], v[2:3]
	v_fma_f64 v[2:3], v[13:14], v[8:9], -v[2:3]
	v_fma_f64 v[8:9], v[0:1], 0.5, v[11:12]
	v_fma_f64 v[0:1], v[0:1], 0.5, -v[11:12]
	v_fma_f64 v[11:12], -v[6:7], v[4:5], v[15:16]
	v_fma_f64 v[2:3], -v[6:7], v[4:5], v[2:3]
	ds_write_b64 v195, v[11:12] offset:8
	ds_write_b64 v10, v[2:3] offset:4360
	v_fma_f64 v[4:5], v[13:14], v[6:7], v[8:9]
	v_mov_b32_e32 v8, v70
	v_fma_f64 v[6:7], -v[13:14], v[6:7], v[0:1]
	v_mov_b32_e32 v9, v71
                                        ; implicit-def: $vgpr0_vgpr1
.LBB0_18:
	s_andn2_saveexec_b32 s0, s5
	s_cbranch_execz .LBB0_20
; %bb.19:
	s_mov_b32 s6, 0
	s_waitcnt lgkmcnt(0)
	v_add_f64 v[6:7], v[0:1], -v[2:3]
	s_mov_b32 s7, s6
	v_mov_b32_e32 v4, s6
	v_mov_b32_e32 v5, s7
	;; [unrolled: 1-line block ×4, first 2 shown]
	ds_write_b64 v195, v[4:5] offset:8
	ds_write_b64 v10, v[4:5] offset:4360
	ds_read_b64 v[11:12], v194 offset:2184
	v_add_f64 v[4:5], v[0:1], v[2:3]
	s_waitcnt lgkmcnt(0)
	v_xor_b32_e32 v12, 0x80000000, v12
	ds_write_b64 v194, v[11:12] offset:2184
.LBB0_20:
	s_or_b32 exec_lo, exec_lo, s0
	s_waitcnt lgkmcnt(0)
	v_lshlrev_b64 v[0:1], 4, v[8:9]
	v_xor_b32_e32 v8, 0xff, v70
	v_lshl_add_u32 v27, v8, 4, v194
	v_add_co_u32 v23, s0, s1, v0
	v_add_co_ci_u32_e64 v24, s0, s4, v1, s0
	s_clause 0x1
	global_load_dwordx4 v[0:3], v[23:24], off offset:272
	global_load_dwordx4 v[11:14], v[23:24], off offset:544
	ds_write_b64 v195, v[4:5]
	ds_write_b64 v10, v[6:7] offset:4352
	ds_read_b128 v[4:7], v195 offset:272
	ds_read_b128 v[15:18], v27
	global_load_dwordx4 v[19:22], v[23:24], off offset:816
	s_waitcnt lgkmcnt(0)
	v_add_f64 v[8:9], v[4:5], -v[15:16]
	v_add_f64 v[25:26], v[6:7], v[17:18]
	v_add_f64 v[6:7], v[6:7], -v[17:18]
	v_add_f64 v[4:5], v[4:5], v[15:16]
	v_mul_f64 v[8:9], v[8:9], 0.5
	v_mul_f64 v[17:18], v[25:26], 0.5
	v_mul_f64 v[6:7], v[6:7], 0.5
	s_waitcnt vmcnt(2)
	v_mul_f64 v[15:16], v[8:9], v[2:3]
	v_fma_f64 v[25:26], v[17:18], v[2:3], v[6:7]
	v_fma_f64 v[2:3], v[17:18], v[2:3], -v[6:7]
	v_fma_f64 v[6:7], v[4:5], 0.5, v[15:16]
	v_fma_f64 v[15:16], v[4:5], 0.5, -v[15:16]
	v_fma_f64 v[4:5], -v[0:1], v[8:9], v[25:26]
	v_fma_f64 v[8:9], -v[0:1], v[8:9], v[2:3]
	v_fma_f64 v[2:3], v[17:18], v[0:1], v[6:7]
	v_fma_f64 v[6:7], -v[17:18], v[0:1], v[15:16]
	ds_write_b128 v195, v[2:5] offset:272
	ds_write_b128 v27, v[6:9]
	ds_read_b128 v[0:3], v195 offset:544
	ds_read_b128 v[4:7], v10 offset:3808
	global_load_dwordx4 v[15:18], v[23:24], off offset:1088
	s_waitcnt lgkmcnt(0)
	v_add_f64 v[8:9], v[0:1], -v[4:5]
	v_add_f64 v[25:26], v[2:3], v[6:7]
	v_add_f64 v[2:3], v[2:3], -v[6:7]
	v_add_f64 v[0:1], v[0:1], v[4:5]
	v_mul_f64 v[6:7], v[8:9], 0.5
	v_mul_f64 v[8:9], v[25:26], 0.5
	v_mul_f64 v[2:3], v[2:3], 0.5
	s_waitcnt vmcnt(2)
	v_mul_f64 v[4:5], v[6:7], v[13:14]
	v_fma_f64 v[25:26], v[8:9], v[13:14], v[2:3]
	v_fma_f64 v[2:3], v[8:9], v[13:14], -v[2:3]
	v_fma_f64 v[13:14], v[0:1], 0.5, v[4:5]
	v_fma_f64 v[0:1], v[0:1], 0.5, -v[4:5]
	v_fma_f64 v[4:5], -v[11:12], v[6:7], v[25:26]
	v_fma_f64 v[2:3], -v[11:12], v[6:7], v[2:3]
	v_fma_f64 v[6:7], v[8:9], v[11:12], v[13:14]
	v_fma_f64 v[0:1], -v[8:9], v[11:12], v[0:1]
	ds_write2_b64 v195, v[6:7], v[4:5] offset0:68 offset1:69
	ds_write_b128 v10, v[0:3] offset:3808
	ds_read_b128 v[0:3], v195 offset:816
	ds_read_b128 v[4:7], v10 offset:3536
	global_load_dwordx4 v[11:14], v[23:24], off offset:1360
	s_waitcnt lgkmcnt(0)
	v_add_f64 v[8:9], v[0:1], -v[4:5]
	v_add_f64 v[25:26], v[2:3], v[6:7]
	v_add_f64 v[2:3], v[2:3], -v[6:7]
	v_add_f64 v[0:1], v[0:1], v[4:5]
	v_mul_f64 v[6:7], v[8:9], 0.5
	v_mul_f64 v[8:9], v[25:26], 0.5
	v_mul_f64 v[2:3], v[2:3], 0.5
	s_waitcnt vmcnt(2)
	v_mul_f64 v[4:5], v[6:7], v[21:22]
	v_fma_f64 v[25:26], v[8:9], v[21:22], v[2:3]
	v_fma_f64 v[2:3], v[8:9], v[21:22], -v[2:3]
	v_fma_f64 v[21:22], v[0:1], 0.5, v[4:5]
	v_fma_f64 v[0:1], v[0:1], 0.5, -v[4:5]
	v_fma_f64 v[4:5], -v[19:20], v[6:7], v[25:26]
	v_fma_f64 v[2:3], -v[19:20], v[6:7], v[2:3]
	v_fma_f64 v[6:7], v[8:9], v[19:20], v[21:22]
	v_fma_f64 v[0:1], -v[8:9], v[19:20], v[0:1]
	ds_write2_b64 v195, v[6:7], v[4:5] offset0:102 offset1:103
	ds_write_b128 v10, v[0:3] offset:3536
	ds_read_b128 v[0:3], v195 offset:1088
	ds_read_b128 v[4:7], v10 offset:3264
	global_load_dwordx4 v[19:22], v[23:24], off offset:1632
	s_waitcnt lgkmcnt(0)
	v_add_f64 v[8:9], v[0:1], -v[4:5]
	v_add_f64 v[25:26], v[2:3], v[6:7]
	v_add_f64 v[2:3], v[2:3], -v[6:7]
	v_add_f64 v[0:1], v[0:1], v[4:5]
	v_mul_f64 v[6:7], v[8:9], 0.5
	v_mul_f64 v[8:9], v[25:26], 0.5
	v_mul_f64 v[2:3], v[2:3], 0.5
	s_waitcnt vmcnt(2)
	v_mul_f64 v[4:5], v[6:7], v[17:18]
	v_fma_f64 v[25:26], v[8:9], v[17:18], v[2:3]
	v_fma_f64 v[2:3], v[8:9], v[17:18], -v[2:3]
	v_fma_f64 v[17:18], v[0:1], 0.5, v[4:5]
	v_fma_f64 v[0:1], v[0:1], 0.5, -v[4:5]
	v_fma_f64 v[4:5], -v[15:16], v[6:7], v[25:26]
	v_fma_f64 v[2:3], -v[15:16], v[6:7], v[2:3]
	v_fma_f64 v[6:7], v[8:9], v[15:16], v[17:18]
	v_fma_f64 v[0:1], -v[8:9], v[15:16], v[0:1]
	ds_write2_b64 v195, v[6:7], v[4:5] offset0:136 offset1:137
	ds_write_b128 v10, v[0:3] offset:3264
	ds_read_b128 v[0:3], v195 offset:1360
	ds_read_b128 v[4:7], v10 offset:2992
	global_load_dwordx4 v[15:18], v[23:24], off offset:1904
	s_waitcnt lgkmcnt(0)
	v_add_f64 v[8:9], v[0:1], -v[4:5]
	v_add_f64 v[23:24], v[2:3], v[6:7]
	v_add_f64 v[2:3], v[2:3], -v[6:7]
	v_add_f64 v[0:1], v[0:1], v[4:5]
	v_mul_f64 v[6:7], v[8:9], 0.5
	v_mul_f64 v[8:9], v[23:24], 0.5
	v_mul_f64 v[2:3], v[2:3], 0.5
	s_waitcnt vmcnt(2)
	v_mul_f64 v[4:5], v[6:7], v[13:14]
	v_fma_f64 v[23:24], v[8:9], v[13:14], v[2:3]
	v_fma_f64 v[2:3], v[8:9], v[13:14], -v[2:3]
	v_fma_f64 v[13:14], v[0:1], 0.5, v[4:5]
	v_fma_f64 v[0:1], v[0:1], 0.5, -v[4:5]
	v_fma_f64 v[4:5], -v[11:12], v[6:7], v[23:24]
	v_fma_f64 v[2:3], -v[11:12], v[6:7], v[2:3]
	v_fma_f64 v[6:7], v[8:9], v[11:12], v[13:14]
	v_fma_f64 v[0:1], -v[8:9], v[11:12], v[0:1]
	ds_write2_b64 v195, v[6:7], v[4:5] offset0:170 offset1:171
	ds_write_b128 v10, v[0:3] offset:2992
	ds_read_b128 v[0:3], v195 offset:1632
	ds_read_b128 v[4:7], v10 offset:2720
	s_waitcnt lgkmcnt(0)
	v_add_f64 v[8:9], v[0:1], -v[4:5]
	v_add_f64 v[11:12], v[2:3], v[6:7]
	v_add_f64 v[2:3], v[2:3], -v[6:7]
	v_add_f64 v[0:1], v[0:1], v[4:5]
	v_mul_f64 v[6:7], v[8:9], 0.5
	v_mul_f64 v[8:9], v[11:12], 0.5
	;; [unrolled: 1-line block ×3, first 2 shown]
	s_waitcnt vmcnt(1)
	v_mul_f64 v[4:5], v[6:7], v[21:22]
	v_fma_f64 v[11:12], v[8:9], v[21:22], v[2:3]
	v_fma_f64 v[2:3], v[8:9], v[21:22], -v[2:3]
	v_fma_f64 v[13:14], v[0:1], 0.5, v[4:5]
	v_fma_f64 v[0:1], v[0:1], 0.5, -v[4:5]
	v_fma_f64 v[4:5], -v[19:20], v[6:7], v[11:12]
	v_fma_f64 v[2:3], -v[19:20], v[6:7], v[2:3]
	v_fma_f64 v[6:7], v[8:9], v[19:20], v[13:14]
	v_fma_f64 v[0:1], -v[8:9], v[19:20], v[0:1]
	ds_write2_b64 v195, v[6:7], v[4:5] offset0:204 offset1:205
	ds_write_b128 v10, v[0:3] offset:2720
	ds_read_b128 v[0:3], v195 offset:1904
	ds_read_b128 v[4:7], v10 offset:2448
	s_waitcnt lgkmcnt(0)
	v_add_f64 v[8:9], v[0:1], -v[4:5]
	v_add_f64 v[11:12], v[2:3], v[6:7]
	v_add_f64 v[2:3], v[2:3], -v[6:7]
	v_add_f64 v[0:1], v[0:1], v[4:5]
	v_mul_f64 v[6:7], v[8:9], 0.5
	v_mul_f64 v[8:9], v[11:12], 0.5
	;; [unrolled: 1-line block ×3, first 2 shown]
	s_waitcnt vmcnt(0)
	v_mul_f64 v[4:5], v[6:7], v[17:18]
	v_fma_f64 v[11:12], v[8:9], v[17:18], v[2:3]
	v_fma_f64 v[2:3], v[8:9], v[17:18], -v[2:3]
	v_fma_f64 v[13:14], v[0:1], 0.5, v[4:5]
	v_fma_f64 v[0:1], v[0:1], 0.5, -v[4:5]
	v_fma_f64 v[4:5], -v[15:16], v[6:7], v[11:12]
	v_fma_f64 v[2:3], -v[15:16], v[6:7], v[2:3]
	v_fma_f64 v[6:7], v[8:9], v[15:16], v[13:14]
	v_fma_f64 v[0:1], -v[8:9], v[15:16], v[0:1]
	ds_write2_b64 v195, v[6:7], v[4:5] offset0:238 offset1:239
	ds_write_b128 v10, v[0:3] offset:2448
	s_waitcnt lgkmcnt(0)
	s_barrier
	buffer_gl0_inv
	s_and_saveexec_b32 s0, vcc_lo
	s_cbranch_execz .LBB0_23
; %bb.21:
	v_mul_lo_u32 v3, s3, v72
	v_mul_lo_u32 v4, s2, v73
	v_mad_u64_u32 v[1:2], null, s2, v72, 0
	v_mov_b32_e32 v71, 0
	v_lshlrev_b64 v[11:12], 4, v[68:69]
	v_lshl_add_u32 v0, v70, 4, v194
	v_add_nc_u32_e32 v13, 17, v70
	v_add_nc_u32_e32 v15, 34, v70
	v_lshlrev_b64 v[17:18], 4, v[70:71]
	v_add3_u32 v2, v2, v4, v3
	v_mov_b32_e32 v14, v71
	v_mov_b32_e32 v16, v71
	ds_read_b128 v[3:6], v0
	ds_read_b128 v[7:10], v0 offset:272
	v_add_nc_u32_e32 v25, 51, v70
	v_lshlrev_b64 v[1:2], 4, v[1:2]
	v_lshlrev_b64 v[19:20], 4, v[13:14]
	;; [unrolled: 1-line block ×3, first 2 shown]
	v_mov_b32_e32 v26, v71
	v_add_nc_u32_e32 v27, 0x44, v70
	v_mov_b32_e32 v28, v71
	v_add_co_u32 v1, vcc_lo, s10, v1
	v_add_co_ci_u32_e32 v2, vcc_lo, s11, v2, vcc_lo
	v_lshlrev_b64 v[25:26], 4, v[25:26]
	v_add_co_u32 v1, vcc_lo, v1, v11
	v_add_co_ci_u32_e32 v2, vcc_lo, v2, v12, vcc_lo
	v_add_co_u32 v23, vcc_lo, v1, v17
	v_add_co_ci_u32_e32 v24, vcc_lo, v2, v18, vcc_lo
	ds_read_b128 v[11:14], v0 offset:544
	ds_read_b128 v[15:18], v0 offset:816
	v_add_co_u32 v19, vcc_lo, v1, v19
	v_add_co_ci_u32_e32 v20, vcc_lo, v2, v20, vcc_lo
	v_add_co_u32 v21, vcc_lo, v1, v21
	v_add_co_ci_u32_e32 v22, vcc_lo, v2, v22, vcc_lo
	v_add_co_u32 v25, vcc_lo, v1, v25
	v_add_co_ci_u32_e32 v26, vcc_lo, v2, v26, vcc_lo
	s_waitcnt lgkmcnt(3)
	global_store_dwordx4 v[23:24], v[3:6], off
	s_waitcnt lgkmcnt(2)
	global_store_dwordx4 v[19:20], v[7:10], off
	;; [unrolled: 2-line block ×4, first 2 shown]
	v_lshlrev_b64 v[3:4], 4, v[27:28]
	v_add_nc_u32_e32 v11, 0x55, v70
	v_mov_b32_e32 v12, v71
	v_add_nc_u32_e32 v13, 0x66, v70
	v_mov_b32_e32 v14, v71
	v_add_nc_u32_e32 v25, 0x77, v70
	v_add_co_u32 v19, vcc_lo, v1, v3
	v_add_co_ci_u32_e32 v20, vcc_lo, v2, v4, vcc_lo
	ds_read_b128 v[3:6], v0 offset:1088
	ds_read_b128 v[7:10], v0 offset:1360
	v_lshlrev_b64 v[21:22], 4, v[11:12]
	v_lshlrev_b64 v[23:24], 4, v[13:14]
	ds_read_b128 v[11:14], v0 offset:1632
	ds_read_b128 v[15:18], v0 offset:1904
	v_mov_b32_e32 v26, v71
	v_add_nc_u32_e32 v27, 0x88, v70
	v_add_co_u32 v21, vcc_lo, v1, v21
	v_lshlrev_b64 v[25:26], 4, v[25:26]
	v_add_co_ci_u32_e32 v22, vcc_lo, v2, v22, vcc_lo
	v_add_co_u32 v23, vcc_lo, v1, v23
	v_add_co_ci_u32_e32 v24, vcc_lo, v2, v24, vcc_lo
	v_add_co_u32 v25, vcc_lo, v1, v25
	v_add_co_ci_u32_e32 v26, vcc_lo, v2, v26, vcc_lo
	s_waitcnt lgkmcnt(3)
	global_store_dwordx4 v[19:20], v[3:6], off
	s_waitcnt lgkmcnt(2)
	global_store_dwordx4 v[21:22], v[7:10], off
	;; [unrolled: 2-line block ×4, first 2 shown]
	v_lshlrev_b64 v[3:4], 4, v[27:28]
	v_add_nc_u32_e32 v11, 0x99, v70
	v_mov_b32_e32 v12, v71
	v_add_nc_u32_e32 v13, 0xaa, v70
	v_mov_b32_e32 v14, v71
	v_add_nc_u32_e32 v25, 0xbb, v70
	v_add_co_u32 v19, vcc_lo, v1, v3
	v_add_co_ci_u32_e32 v20, vcc_lo, v2, v4, vcc_lo
	ds_read_b128 v[3:6], v0 offset:2176
	ds_read_b128 v[7:10], v0 offset:2448
	v_lshlrev_b64 v[21:22], 4, v[11:12]
	v_lshlrev_b64 v[23:24], 4, v[13:14]
	ds_read_b128 v[11:14], v0 offset:2720
	ds_read_b128 v[15:18], v0 offset:2992
	v_mov_b32_e32 v26, v71
	v_add_nc_u32_e32 v27, 0xcc, v70
	v_add_co_u32 v21, vcc_lo, v1, v21
	v_lshlrev_b64 v[25:26], 4, v[25:26]
	v_add_co_ci_u32_e32 v22, vcc_lo, v2, v22, vcc_lo
	v_add_co_u32 v23, vcc_lo, v1, v23
	v_add_co_ci_u32_e32 v24, vcc_lo, v2, v24, vcc_lo
	v_add_co_u32 v25, vcc_lo, v1, v25
	v_add_co_ci_u32_e32 v26, vcc_lo, v2, v26, vcc_lo
	s_waitcnt lgkmcnt(3)
	global_store_dwordx4 v[19:20], v[3:6], off
	s_waitcnt lgkmcnt(2)
	global_store_dwordx4 v[21:22], v[7:10], off
	;; [unrolled: 2-line block ×4, first 2 shown]
	v_lshlrev_b64 v[3:4], 4, v[27:28]
	v_add_nc_u32_e32 v11, 0xdd, v70
	v_mov_b32_e32 v12, v71
	v_add_nc_u32_e32 v13, 0xee, v70
	v_mov_b32_e32 v14, v71
	v_add_nc_u32_e32 v25, 0xff, v70
	v_add_co_u32 v19, vcc_lo, v1, v3
	v_add_co_ci_u32_e32 v20, vcc_lo, v2, v4, vcc_lo
	ds_read_b128 v[3:6], v0 offset:3264
	ds_read_b128 v[7:10], v0 offset:3536
	v_lshlrev_b64 v[21:22], 4, v[11:12]
	v_lshlrev_b64 v[23:24], 4, v[13:14]
	ds_read_b128 v[11:14], v0 offset:3808
	ds_read_b128 v[15:18], v0 offset:4080
	v_mov_b32_e32 v26, v71
	v_add_co_u32 v21, vcc_lo, v1, v21
	v_lshlrev_b64 v[25:26], 4, v[25:26]
	v_add_co_ci_u32_e32 v22, vcc_lo, v2, v22, vcc_lo
	v_add_co_u32 v23, vcc_lo, v1, v23
	v_add_co_ci_u32_e32 v24, vcc_lo, v2, v24, vcc_lo
	v_add_co_u32 v25, vcc_lo, v1, v25
	v_add_co_ci_u32_e32 v26, vcc_lo, v2, v26, vcc_lo
	v_cmp_eq_u32_e32 vcc_lo, 16, v70
	s_waitcnt lgkmcnt(3)
	global_store_dwordx4 v[19:20], v[3:6], off
	s_waitcnt lgkmcnt(2)
	global_store_dwordx4 v[21:22], v[7:10], off
	;; [unrolled: 2-line block ×4, first 2 shown]
	s_and_b32 exec_lo, exec_lo, vcc_lo
	s_cbranch_execz .LBB0_23
; %bb.22:
	ds_read_b128 v[3:6], v0 offset:4096
	v_add_co_u32 v0, vcc_lo, 0x1000, v1
	v_add_co_ci_u32_e32 v1, vcc_lo, 0, v2, vcc_lo
	s_waitcnt lgkmcnt(0)
	global_store_dwordx4 v[0:1], v[3:6], off offset:256
.LBB0_23:
	s_endpgm
	.section	.rodata,"a",@progbits
	.p2align	6, 0x0
	.amdhsa_kernel fft_rtc_fwd_len272_factors_16_17_wgs_119_tpt_17_halfLds_dp_op_CI_CI_unitstride_sbrr_R2C_dirReg
		.amdhsa_group_segment_fixed_size 0
		.amdhsa_private_segment_fixed_size 0
		.amdhsa_kernarg_size 104
		.amdhsa_user_sgpr_count 6
		.amdhsa_user_sgpr_private_segment_buffer 1
		.amdhsa_user_sgpr_dispatch_ptr 0
		.amdhsa_user_sgpr_queue_ptr 0
		.amdhsa_user_sgpr_kernarg_segment_ptr 1
		.amdhsa_user_sgpr_dispatch_id 0
		.amdhsa_user_sgpr_flat_scratch_init 0
		.amdhsa_user_sgpr_private_segment_size 0
		.amdhsa_wavefront_size32 1
		.amdhsa_uses_dynamic_stack 0
		.amdhsa_system_sgpr_private_segment_wavefront_offset 0
		.amdhsa_system_sgpr_workgroup_id_x 1
		.amdhsa_system_sgpr_workgroup_id_y 0
		.amdhsa_system_sgpr_workgroup_id_z 0
		.amdhsa_system_sgpr_workgroup_info 0
		.amdhsa_system_vgpr_workitem_id 0
		.amdhsa_next_free_vgpr 227
		.amdhsa_next_free_sgpr 56
		.amdhsa_reserve_vcc 1
		.amdhsa_reserve_flat_scratch 0
		.amdhsa_float_round_mode_32 0
		.amdhsa_float_round_mode_16_64 0
		.amdhsa_float_denorm_mode_32 3
		.amdhsa_float_denorm_mode_16_64 3
		.amdhsa_dx10_clamp 1
		.amdhsa_ieee_mode 1
		.amdhsa_fp16_overflow 0
		.amdhsa_workgroup_processor_mode 1
		.amdhsa_memory_ordered 1
		.amdhsa_forward_progress 0
		.amdhsa_shared_vgpr_count 0
		.amdhsa_exception_fp_ieee_invalid_op 0
		.amdhsa_exception_fp_denorm_src 0
		.amdhsa_exception_fp_ieee_div_zero 0
		.amdhsa_exception_fp_ieee_overflow 0
		.amdhsa_exception_fp_ieee_underflow 0
		.amdhsa_exception_fp_ieee_inexact 0
		.amdhsa_exception_int_div_zero 0
	.end_amdhsa_kernel
	.text
.Lfunc_end0:
	.size	fft_rtc_fwd_len272_factors_16_17_wgs_119_tpt_17_halfLds_dp_op_CI_CI_unitstride_sbrr_R2C_dirReg, .Lfunc_end0-fft_rtc_fwd_len272_factors_16_17_wgs_119_tpt_17_halfLds_dp_op_CI_CI_unitstride_sbrr_R2C_dirReg
                                        ; -- End function
	.section	.AMDGPU.csdata,"",@progbits
; Kernel info:
; codeLenInByte = 13044
; NumSgprs: 58
; NumVgprs: 227
; ScratchSize: 0
; MemoryBound: 0
; FloatMode: 240
; IeeeMode: 1
; LDSByteSize: 0 bytes/workgroup (compile time only)
; SGPRBlocks: 7
; VGPRBlocks: 28
; NumSGPRsForWavesPerEU: 58
; NumVGPRsForWavesPerEU: 227
; Occupancy: 4
; WaveLimiterHint : 1
; COMPUTE_PGM_RSRC2:SCRATCH_EN: 0
; COMPUTE_PGM_RSRC2:USER_SGPR: 6
; COMPUTE_PGM_RSRC2:TRAP_HANDLER: 0
; COMPUTE_PGM_RSRC2:TGID_X_EN: 1
; COMPUTE_PGM_RSRC2:TGID_Y_EN: 0
; COMPUTE_PGM_RSRC2:TGID_Z_EN: 0
; COMPUTE_PGM_RSRC2:TIDIG_COMP_CNT: 0
	.text
	.p2alignl 6, 3214868480
	.fill 48, 4, 3214868480
	.type	__hip_cuid_d6e28e9c084680fd,@object ; @__hip_cuid_d6e28e9c084680fd
	.section	.bss,"aw",@nobits
	.globl	__hip_cuid_d6e28e9c084680fd
__hip_cuid_d6e28e9c084680fd:
	.byte	0                               ; 0x0
	.size	__hip_cuid_d6e28e9c084680fd, 1

	.ident	"AMD clang version 19.0.0git (https://github.com/RadeonOpenCompute/llvm-project roc-6.4.0 25133 c7fe45cf4b819c5991fe208aaa96edf142730f1d)"
	.section	".note.GNU-stack","",@progbits
	.addrsig
	.addrsig_sym __hip_cuid_d6e28e9c084680fd
	.amdgpu_metadata
---
amdhsa.kernels:
  - .args:
      - .actual_access:  read_only
        .address_space:  global
        .offset:         0
        .size:           8
        .value_kind:     global_buffer
      - .offset:         8
        .size:           8
        .value_kind:     by_value
      - .actual_access:  read_only
        .address_space:  global
        .offset:         16
        .size:           8
        .value_kind:     global_buffer
      - .actual_access:  read_only
        .address_space:  global
        .offset:         24
        .size:           8
        .value_kind:     global_buffer
      - .actual_access:  read_only
        .address_space:  global
        .offset:         32
        .size:           8
        .value_kind:     global_buffer
      - .offset:         40
        .size:           8
        .value_kind:     by_value
      - .actual_access:  read_only
        .address_space:  global
        .offset:         48
        .size:           8
        .value_kind:     global_buffer
      - .actual_access:  read_only
        .address_space:  global
        .offset:         56
        .size:           8
        .value_kind:     global_buffer
      - .offset:         64
        .size:           4
        .value_kind:     by_value
      - .actual_access:  read_only
        .address_space:  global
        .offset:         72
        .size:           8
        .value_kind:     global_buffer
      - .actual_access:  read_only
        .address_space:  global
        .offset:         80
        .size:           8
        .value_kind:     global_buffer
      - .actual_access:  read_only
        .address_space:  global
        .offset:         88
        .size:           8
        .value_kind:     global_buffer
      - .actual_access:  write_only
        .address_space:  global
        .offset:         96
        .size:           8
        .value_kind:     global_buffer
    .group_segment_fixed_size: 0
    .kernarg_segment_align: 8
    .kernarg_segment_size: 104
    .language:       OpenCL C
    .language_version:
      - 2
      - 0
    .max_flat_workgroup_size: 119
    .name:           fft_rtc_fwd_len272_factors_16_17_wgs_119_tpt_17_halfLds_dp_op_CI_CI_unitstride_sbrr_R2C_dirReg
    .private_segment_fixed_size: 0
    .sgpr_count:     58
    .sgpr_spill_count: 0
    .symbol:         fft_rtc_fwd_len272_factors_16_17_wgs_119_tpt_17_halfLds_dp_op_CI_CI_unitstride_sbrr_R2C_dirReg.kd
    .uniform_work_group_size: 1
    .uses_dynamic_stack: false
    .vgpr_count:     227
    .vgpr_spill_count: 0
    .wavefront_size: 32
    .workgroup_processor_mode: 1
amdhsa.target:   amdgcn-amd-amdhsa--gfx1030
amdhsa.version:
  - 1
  - 2
...

	.end_amdgpu_metadata
